;; amdgpu-corpus repo=ROCm/aiter kind=harvested arch=n/a opt=n/a

/root/src/amdgpu-assembly/repos/ROCm__aiter/hsa/gfx950/fmha_v3_fwd/fwd_hd128_fp8_causal.co:	file format elf64-amdgpu

Disassembly of section .text:

0000000000003c00 <_ZN5aiter31fmha_fwd_hd128_fp8_causal_gfx950E>:
	s_and_b32 s1, s1, 0xffff                                   // 000000003C00: 8601FF01 0000FFFF
	s_mov_b32 s63, s2                                          // 000000003C08: BEBF0002
	s_mov_b32 s64, s3                                          // 000000003C0C: BEC00003
	s_mov_b32 s65, s4                                          // 000000003C10: BEC10004
	s_load_dwordx2 s[4:5], s[0:1], 0x0                         // 000000003C14: C0060100 00000000
	s_load_dwordx2 s[8:9], s[0:1], 0x10                        // 000000003C1C: C0060200 00000010
	s_load_dwordx2 s[12:13], s[0:1], 0x20                      // 000000003C24: C0060300 00000020
	s_load_dwordx2 s[16:17], s[0:1], 0x30                      // 000000003C2C: C0060400 00000030
	s_load_dword s28, s[0:1], 0x50                             // 000000003C34: C0020700 00000050
	s_load_dword s29, s[0:1], 0x60                             // 000000003C3C: C0020740 00000060
	s_load_dword s36, s[0:1], 0x70                             // 000000003C44: C0020900 00000070
	s_load_dword s30, s[0:1], 0x80                             // 000000003C4C: C0020780 00000080
	s_load_dword s31, s[0:1], 0x90                             // 000000003C54: C00207C0 00000090
	s_load_dword s32, s[0:1], 0xa0                             // 000000003C5C: C0020800 000000A0
	s_load_dword s58, s[0:1], 0xb0                             // 000000003C64: C0020E80 000000B0
	s_load_dword s59, s[0:1], 0x110                            // 000000003C6C: C0020EC0 00000110
	s_load_dword s38, s[0:1], 0xc0                             // 000000003C74: C0020980 000000C0
	s_load_dword s52, s[0:1], 0xd0                             // 000000003C7C: C0020D00 000000D0
	s_load_dword s53, s[0:1], 0xe0                             // 000000003C84: C0020D40 000000E0
	s_load_dword s39, s[0:1], 0x150                            // 000000003C8C: C00209C0 00000150
	s_load_dword s54, s[0:1], 0x160                            // 000000003C94: C0020D80 00000160
	s_load_dword s55, s[0:1], 0x170                            // 000000003C9C: C0020DC0 00000170
	s_load_dword s37, s[0:1], 0x180                            // 000000003CA4: C0020940 00000180
	s_load_dword s56, s[0:1], 0x190                            // 000000003CAC: C0020E00 00000190
	s_load_dword s57, s[0:1], 0x1a0                            // 000000003CB4: C0020E40 000001A0
	s_load_dwordx2 s[20:21], s[0:1], 0x200                     // 000000003CBC: C0060500 00000200
	s_load_dwordx2 s[22:23], s[0:1], 0x210                     // 000000003CC4: C0060580 00000210
	s_load_dwordx2 s[24:25], s[0:1], 0x220                     // 000000003CCC: C0060600 00000220
	v_lshrrev_b32_e32 v1, 10, v0                               // 000000003CD4: 2002008A
	v_lshrrev_b32_e32 v2, 10, v1                               // 000000003CD8: 2004028A
	v_and_b32_e32 v2, 0x3ff, v2                                // 000000003CDC: 260404FF 000003FF
	v_and_b32_e32 v1, 0x3ff, v1                                // 000000003CE4: 260202FF 000003FF
	v_and_b32_e32 v0, 0x3ff, v0                                // 000000003CEC: 260000FF 000003FF
	v_lshrrev_b32_e32 v3, 6, v0                                // 000000003CF4: 20060086
	v_and_b32_e32 v0, 63, v0                                   // 000000003CF8: 260000BF
	v_readfirstlane_b32 s62, v3                                // 000000003CFC: 7E7C0503
	v_and_b32_e32 v184, 31, v0                                 // 000000003D00: 2770009F
	v_lshrrev_b32_e32 v184, 2, v184                            // 000000003D04: 21717082
	v_lshrrev_b32_e32 v185, 5, v0                              // 000000003D08: 21720085
	v_lshlrev_b32_e32 v185, 5, v185                            // 000000003D0C: 25737285
	v_add_u32_e32 v198, v184, v185                             // 000000003D10: 698D73B8
	v_lshrrev_b32_e32 v184, 4, v0                              // 000000003D14: 21700084
	v_lshlrev_b32_e32 v184, 4, v184                            // 000000003D18: 25717084
	v_lshrrev_b32_e32 v185, 3, v0                              // 000000003D1C: 21720083
	v_and_b32_e32 v185, 1, v185                                // 000000003D20: 27737281
	v_add_u32_e32 v199, v184, v185                             // 000000003D24: 698F73B8
	v_lshrrev_b32_e32 v184, 5, v0                              // 000000003D28: 21700085
	v_lshlrev_b32_e32 v184, 4, v184                            // 000000003D2C: 25717084
	v_and_b32_e32 v185, 31, v0                                 // 000000003D30: 2772009F
	v_lshrrev_b32_e32 v185, 3, v185                            // 000000003D34: 21737283
	v_mul_i32_i24_e32 v185, 0x410, v185                        // 000000003D38: 0D7372FF 00000410
	v_and_b32_e32 v186, 7, v0                                  // 000000003D40: 27740087
	v_lshlrev_b32_e32 v186, 6, v186                            // 000000003D44: 25757486
	v_add3_u32 v200, v184, v185, v186                          // 000000003D48: D1FF00C8 06EB73B8
	v_lshrrev_b32_e32 v184, 5, v0                              // 000000003D50: 21700085
	v_lshlrev_b32_e32 v195, 2, v184                            // 000000003D54: 25877082
	s_mul_i32 s66, s62, 32                                     // 000000003D58: 9242A03E
	v_and_b32_e32 v196, 31, v0                                 // 000000003D5C: 2788009F
	v_add_u32_e32 v196, s66, v196                              // 000000003D60: 69898842
	s_lshr_b32 s66, s62, 1                                     // 000000003D64: 8F42813E
	s_mul_i32 s66, s66, 0x2080                                 // 000000003D68: 9242FF42 00002080
	s_add_u32 s66, s66, 0                                      // 000000003D70: 80428042
	s_and_b32 s67, s62, 1                                      // 000000003D74: 8643813E
	s_lshl_b32 s67, s67, 9                                     // 000000003D78: 8E438943
	s_add_u32 s66, s67, s66                                    // 000000003D7C: 80424243
	v_add_u32_e32 v205, s66, v200                              // 000000003D80: 699B9042
	v_add_u32_e32 v218, 0x8200, v200                           // 000000003D84: 69B590FF 00008200
	v_lshrrev_b32_e32 v184, 1, v0                              // 000000003D8C: 21700081
	v_and_b32_e32 v184, 7, v184                                // 000000003D90: 27717087
	v_and_b32_e32 v185, 1, v184                                // 000000003D94: 27737081
	v_mul_i32_i24_e32 v185, 0x80, v185                         // 000000003D98: 0D7372FF 00000080
	v_lshrrev_b32_e32 v184, 1, v184                            // 000000003DA0: 21717081
	v_mul_i32_i24_e32 v184, 0x820, v184                        // 000000003DA4: 0D7170FF 00000820
	v_add_u32_e32 v219, v185, v184                             // 000000003DAC: 69B771B9
	v_and_b32_e32 v184, 1, v0                                  // 000000003DB0: 27700081
	v_mul_i32_i24_e32 v184, 8, v184                            // 000000003DB4: 0D717088
	v_add_u32_e32 v219, v184, v219                             // 000000003DB8: 69B7B7B8
	v_lshrrev_b32_e32 v184, 4, v0                              // 000000003DBC: 21700084
	v_and_b32_e32 v185, 1, v184                                // 000000003DC0: 27737081
	v_mul_i32_i24_e32 v185, 16, v185                           // 000000003DC4: 0D737290
	v_add_u32_e32 v219, v185, v219                             // 000000003DC8: 69B7B7B9
	v_lshrrev_b32_e32 v185, 1, v184                            // 000000003DCC: 21737081
	v_mul_i32_i24_e32 v185, 0x410, v185                        // 000000003DD0: 0D7372FF 00000410
	v_add_u32_e32 v219, v185, v219                             // 000000003DD8: 69B7B7B9
	v_add_u32_e32 v219, 0x10400, v219                          // 000000003DDC: 69B7B6FF 00010400
	s_lshr_b32 s66, s62, 1                                     // 000000003DE4: 8F42813E
	s_mul_i32 s66, s66, 4                                      // 000000003DE8: 92428442
	s_and_b32 s67, s62, 1                                      // 000000003DEC: 8643813E
	s_add_u32 s66, s66, s67                                    // 000000003DF0: 80424342
	s_mul_i32 s71, s66, 0x820                                  // 000000003DF4: 9247FF42 00000820
	s_add_u32 s71, 0x8200, s71                                 // 000000003DFC: 804747FF 00008200
	s_and_b32 s67, s62, 3                                      // 000000003E04: 8643833E
	s_mul_i32 s67, s67, 0x1040                                 // 000000003E08: 9243FF43 00001040
	s_add_u32 s72, 0x10400, s67                                // 000000003E10: 804843FF 00010400
	v_mov_b32_e32 v197, 0xff800000                             // 000000003E18: 7F8A02FF FF800000
	s_waitcnt lgkmcnt(0)                                       // 000000003E20: BF8CC07F
	s_and_b32 s21, s21, 0xffff                                 // 000000003E24: 8615FF15 0000FFFF
	s_load_dword s33, s[20:21], 0x0                            // 000000003E2C: C002084A 00000000
	s_and_b32 s23, s23, 0xffff                                 // 000000003E34: 8617FF17 0000FFFF
	s_load_dword s34, s[22:23], 0x0                            // 000000003E3C: C002088B 00000000
	s_and_b32 s25, s25, 0xffff                                 // 000000003E44: 8619FF19 0000FFFF
	s_load_dword s35, s[24:25], 0x0                            // 000000003E4C: C00208CC 00000000
	v_mov_b32_e32 v222, s38                                    // 000000003E54: 7FBC0226
	v_mov_b32_e32 v223, s39                                    // 000000003E58: 7FBE0227
	s_mov_b32 s40, 0                                           // 000000003E5C: BEA80080
	s_mov_b32 s41, 0x100                                       // 000000003E60: BEA900FF 00000100
	s_mov_b32 s42, 0                                           // 000000003E68: BEAA0080
	s_mov_b32 s44, 0                                           // 000000003E6C: BEAC0080
	s_mov_b32 s45, 0x100                                       // 000000003E70: BEAD00FF 00000100
	s_mov_b32 s46, 0                                           // 000000003E78: BEAE0080
	s_mov_b32 s48, -1                                          // 000000003E7C: BEB000C1
	s_mov_b32 s49, 0                                           // 000000003E80: BEB10080
	s_mov_b32 s51, 1                                           // 000000003E84: BEB30081
	s_mul_i32 s50, s63, 0x100                                  // 000000003E88: 9232FF3F 00000100
	s_mov_b32 s43, s59                                         // 000000003E90: BEAB003B
	s_mov_b32 s47, s59                                         // 000000003E94: BEAF003B
	s_waitcnt lgkmcnt(0)                                       // 000000003E98: BF8CC07F
	s_sub_i32 s66, s59, s29                                    // 000000003E9C: 81C21D3B
	s_add_i32 s66, s66, s50                                    // 000000003EA0: 81423242
	s_addk_i32 s66, 0x17f                                      // 000000003EA4: B742017F
	s_and_b32 s66, s66, 0xffffff80                             // 000000003EA8: 8642FF42 FFFFFF80
	s_cmp_lt_i32 s66, s59                                      // 000000003EB0: BF043B42
	s_cselect_b32 s43, s66, s59                                // 000000003EB4: 852B3B42
	v_mov_b32_e32 v184, s28                                    // 000000003EB8: 7F70021C
	v_mul_f32_e32 v184, s33, v184                              // 000000003EBC: 0B717021
	v_mul_f32_e64 v184, v184, s34                              // 000000003EC0: D10500B8 000045B8
	v_mul_f32_e32 v185, 0x3fb8aa3b, v184                       // 000000003EC8: 0B7370FF 3FB8AA3B
	v_readfirstlane_b32 s28, v184                              // 000000003ED0: 7E3805B8
	v_readfirstlane_b32 s26, v185                              // 000000003ED4: 7E3405B9
	s_mov_b32 s27, s26                                         // 000000003ED8: BE9B001A
	s_mov_b32 s66, 0                                           // 000000003EDC: BEC20080
	s_cmp_ge_u32 s58, 2                                        // 000000003EE0: BF09823A
	s_cselect_b32 s67, 1, 0                                    // 000000003EE4: 85438081
	s_add_u32 s66, s66, s67                                    // 000000003EE8: 80424342
	s_cmp_ge_u32 s58, 4                                        // 000000003EEC: BF09843A
	s_cselect_b32 s67, 1, 0                                    // 000000003EF0: 85438081
	s_add_u32 s66, s66, s67                                    // 000000003EF4: 80424342
	s_cmp_ge_u32 s58, 8                                        // 000000003EF8: BF09883A
	s_cselect_b32 s67, 1, 0                                    // 000000003EFC: 85438081
	s_add_u32 s66, s66, s67                                    // 000000003F00: 80424342
	s_cmp_ge_u32 s58, 16                                       // 000000003F04: BF09903A
	s_cselect_b32 s67, 1, 0                                    // 000000003F08: 85438081
	s_add_u32 s58, s66, s67                                    // 000000003F0C: 803A4342
	s_mul_i32 s66, s65, s53                                    // 000000003F10: 92423541
	s_lshr_b32 s67, s64, s58                                   // 000000003F14: 8F433A40
	s_mul_i32 s67, s67, s52                                    // 000000003F18: 92433443
	s_add_u32 s12, s12, s66                                    // 000000003F1C: 800C420C
	s_addc_u32 s13, s13, 0                                     // 000000003F20: 820D800D
	s_add_u32 s12, s12, s67                                    // 000000003F24: 800C430C
	s_addc_u32 s13, s13, 0                                     // 000000003F28: 820D800D
	s_mul_i32 s66, s65, s55                                    // 000000003F2C: 92423741
	s_lshr_b32 s67, s64, s58                                   // 000000003F30: 8F433A40
	s_mul_i32 s67, s67, s54                                    // 000000003F34: 92433643
	s_add_u32 s16, s16, s66                                    // 000000003F38: 80104210
	s_addc_u32 s17, s17, 0                                     // 000000003F3C: 82118011
	s_add_u32 s16, s16, s67                                    // 000000003F40: 80104310
	s_addc_u32 s17, s17, 0                                     // 000000003F44: 82118011
	s_mul_i32 s66, s65, s32                                    // 000000003F48: 92422041
	s_mul_i32 s67, s64, s31                                    // 000000003F4C: 92431F40
	s_add_u32 s67, s67, s66                                    // 000000003F50: 80434243
	s_add_u32 s8, s8, s67                                      // 000000003F54: 80084308
	s_addc_u32 s9, s9, 0                                       // 000000003F58: 82098009
	s_mul_i32 s66, s65, s57                                    // 000000003F5C: 92423941
	s_mul_i32 s67, s64, s56                                    // 000000003F60: 92433840
	s_add_u32 s66, s66, s67                                    // 000000003F64: 80424342
	s_add_u32 s4, s4, s66                                      // 000000003F68: 80044204
	s_addc_u32 s5, s5, 0                                       // 000000003F6C: 82058005
	s_mov_b32 s10, 0x80000000                                  // 000000003F70: BE8A00FF 80000000
	s_mov_b32 s11, 0x20000                                     // 000000003F78: BE8B00FF 00020000
	s_and_b32 s9, s9, 0xffff                                   // 000000003F80: 8609FF09 0000FFFF
	s_or_b32 s9, s9, 0                                         // 000000003F88: 87098009
	s_mov_b32 s10, s30                                         // 000000003F8C: BE8A001E
	s_mov_b32 s14, 0x80000000                                  // 000000003F90: BE8E00FF 80000000
	s_mov_b32 s15, 0x20000                                     // 000000003F98: BE8F00FF 00020000
	s_and_b32 s13, s13, 0xffff                                 // 000000003FA0: 860DFF0D 0000FFFF
	s_or_b32 s13, s13, 0                                       // 000000003FA8: 870D800D
	s_mul_i32 s66, s59, s38                                    // 000000003FAC: 9242263B
	s_mov_b32 s14, s66                                         // 000000003FB0: BE8E0042
	s_mov_b32 s18, 0x80000000                                  // 000000003FB4: BE9200FF 80000000
	s_mov_b32 s19, 0x20000                                     // 000000003FBC: BE9300FF 00020000
	s_and_b32 s17, s17, 0xffff                                 // 000000003FC4: 8611FF11 0000FFFF
	s_or_b32 s17, s17, 0                                       // 000000003FCC: 87118011
	s_mul_i32 s66, s59, s39                                    // 000000003FD0: 9242273B
	s_mov_b32 s18, s66                                         // 000000003FD4: BE920042
	s_mov_b32 s6, 0x80000000                                   // 000000003FD8: BE8600FF 80000000
	s_mov_b32 s7, 0x20000                                      // 000000003FE0: BE8700FF 00020000
	s_and_b32 s5, s5, 0xffff                                   // 000000003FE8: 8605FF05 0000FFFF
	s_or_b32 s5, s5, 0                                         // 000000003FF0: 87058005
	s_mul_i32 s66, 0x100, s37                                  // 000000003FF4: 924225FF 00000100
	s_mov_b32 s6, s66                                          // 000000003FFC: BE860042
	s_lshr_b32 s66, s62, 1                                     // 000000004000: 8F42813E
	s_lshl_b32 s66, s66, 6                                     // 000000004004: 8E428642
	s_and_b32 s67, s62, 1                                      // 000000004008: 8643813E
	s_lshl_b32 s67, s67, 4                                     // 00000000400C: 8E438443
	s_add_u32 s66, s66, s67                                    // 000000004010: 80424342
	v_add_u32_e32 v184, s66, v198                              // 000000004014: 69718C42
	v_and_b32_e32 v185, 3, v0                                  // 000000004018: 27720083
	v_lshlrev_b32_e32 v185, 4, v185                            // 00000000401C: 25737284
	v_mul_i32_i24_e32 v201, s36, v184                          // 000000004020: 0D937024
	v_add_u32_e32 v201, v201, v185                             // 000000004024: 699373C9
	s_lshl_b32 s67, s36, 3                                     // 000000004028: 8E438324
	v_add_u32_e32 v202, s67, v201                              // 00000000402C: 69959243
	s_lshr_b32 s66, s62, 1                                     // 000000004030: 8F42813E
	s_mul_i32 s66, s66, 4                                      // 000000004034: 92428442
	s_and_b32 s67, s62, 1                                      // 000000004038: 8643813E
	s_add_u32 s66, s66, s67                                    // 00000000403C: 80424342
	s_mul_i32 s70, s66, 0x820                                  // 000000004040: 9246FF42 00000820
	s_lshr_b32 s66, s62, 1                                     // 000000004048: 8F42813E
	s_lshl_b32 s66, s66, 6                                     // 00000000404C: 8E428642
	s_and_b32 s67, s62, 1                                      // 000000004050: 8643813E
	s_lshl_b32 s67, s67, 4                                     // 000000004054: 8E438443
	s_add_u32 s66, s66, s67                                    // 000000004058: 80424342
	v_add_u32_e32 v184, s66, v198                              // 00000000405C: 69718C42
	v_and_b32_e32 v185, 1, v0                                  // 000000004060: 27720081
	v_lshlrev_b32_e32 v185, 3, v185                            // 000000004064: 25737283
	v_and_b32_e32 v186, 3, v0                                  // 000000004068: 27740083
	v_lshrrev_b32_e32 v186, 1, v186                            // 00000000406C: 21757481
	v_lshlrev_b32_e32 v186, 7, v186                            // 000000004070: 25757487
	v_add3_u32 v206, v184, v185, v186                          // 000000004074: D1FF00CE 06EB73B8
	v_lshlrev_b32_e32 v206, 2, v206                            // 00000000407C: 259D9C82
	s_lshr_b32 s66, s62, 1                                     // 000000004080: 8F42813E
	s_and_b32 s66, s66, 1                                      // 000000004084: 86428142
	s_lshl_b32 s66, s66, 6                                     // 000000004088: 8E428642
	s_and_b32 s67, s62, 1                                      // 00000000408C: 8643813E
	s_lshl_b32 s67, s67, 3                                     // 000000004090: 8E438343
	s_add_u32 s66, s66, s67                                    // 000000004094: 80424342
	v_add_u32_e32 v184, s66, v199                              // 000000004098: 69718E42
	v_and_b32_e32 v185, 1, v0                                  // 00000000409C: 27720081
	v_lshlrev_b32_e32 v185, 2, v185                            // 0000000040A0: 25737282
	v_and_b32_e32 v186, 3, v0                                  // 0000000040A4: 27740083
	v_lshrrev_b32_e32 v186, 1, v186                            // 0000000040A8: 21757481
	v_lshlrev_b32_e32 v186, 1, v186                            // 0000000040AC: 25757481
	v_add3_u32 v208, v184, v185, v186                          // 0000000040B0: D1FF00D0 06EB73B8
	v_lshlrev_b32_e32 v208, 2, v208                            // 0000000040B8: 25A1A082
	s_lshl_b32 s66, s62, 5                                     // 0000000040BC: 8E42853E
	v_and_b32_e32 v184, 31, v0                                 // 0000000040C0: 2770009F
	v_add_u32_e64 v184, v184, s66                              // 0000000040C4: D13400B8 000085B8
	v_lshrrev_b32_e32 v185, 5, v0                              // 0000000040CC: 21720085
	v_mul_i32_i24_e32 v185, 16, v185                           // 0000000040D0: 0D737290
	v_mul_i32_i24_e32 v186, s37, v184                          // 0000000040D4: 0D757025
	v_add_u32_e32 v220, v185, v186                             // 0000000040D8: 69B975B9
	s_mov_b32 s52, s8                                          // 0000000040DC: BEB40008
	s_mov_b32 s53, s9                                          // 0000000040E0: BEB50009
	s_mov_b32 s54, s4                                          // 0000000040E4: BEB60004
	s_mov_b32 s55, s5                                          // 0000000040E8: BEB70005
	s_add_u32 s56, s29, 0xff                                   // 0000000040EC: 8038FF1D 000000FF
	s_lshr_b32 s56, s56, 8                                     // 0000000040F4: 8F388838
	s_sub_u32 s56, s56, 1                                      // 0000000040F8: 80B88138
	s_mov_b32 s57, s63                                         // 0000000040FC: BEB9003F

0000000000004100 <label_0500>:
	s_mul_i32 s67, s30, s57                                    // 000000004100: 9243391E
	s_add_u32 s8, s52, s67                                     // 000000004104: 80084334
	s_addc_u32 s9, s53, 0                                      // 000000004108: 82098035
	s_mul_i32 s67, 0x100, s57                                  // 00000000410C: 924339FF 00000100
	s_mul_i32 s67, s67, s37                                    // 000000004114: 92432543
	s_add_u32 s4, s54, s67                                     // 000000004118: 80044336
	s_addc_u32 s5, s55, 0                                      // 00000000411C: 82058037
	s_mul_i32 s50, s57, 0x100                                  // 000000004120: 9232FF39 00000100
	s_sub_i32 s66, s59, s29                                    // 000000004128: 81C21D3B
	s_add_i32 s66, s66, s50                                    // 00000000412C: 81423242
	s_addk_i32 s66, 0x17f                                      // 000000004130: B742017F
	s_and_b32 s66, s66, 0xffffff80                             // 000000004134: 8642FF42 FFFFFF80
	s_cmp_lt_i32 s66, s59                                      // 00000000413C: BF043B42
	s_cselect_b32 s43, s66, s59                                // 000000004140: 852B3B42
	s_mul_i32 s66, s57, 0x100                                  // 000000004144: 9242FF39 00000100
	s_sub_u32 s66, s29, s66                                    // 00000000414C: 80C2421D
	s_cmp_le_u32 s66, 0x100                                    // 000000004150: BF0BFF42 00000100
	s_cselect_b32 s66, s66, 0x100                              // 000000004158: 8542FF42 00000100
	s_mul_i32 s67, s66, s36                                    // 000000004160: 92432442
	s_mov_b32 s10, s67                                         // 000000004164: BE8A0043
	s_mul_i32 s67, s66, s37                                    // 000000004168: 92432542
	s_mov_b32 s6, s67                                          // 00000000416C: BE860043
	v_mov_b64_e32 v[116:117], 0                                // 000000004170: 7EE87080
	v_mov_b64_e32 v[118:119], 0                                // 000000004174: 7EEC7080
	v_mov_b64_e32 v[120:121], 0                                // 000000004178: 7EF07080
	v_mov_b64_e32 v[122:123], 0                                // 00000000417C: 7EF47080
	v_mov_b64_e32 v[124:125], 0                                // 000000004180: 7EF87080
	v_mov_b64_e32 v[126:127], 0                                // 000000004184: 7EFC7080
	v_mov_b64_e32 v[128:129], 0                                // 000000004188: 7F007080
	v_mov_b64_e32 v[130:131], 0                                // 00000000418C: 7F047080
	v_mov_b64_e32 v[132:133], 0                                // 000000004190: 7F087080
	v_mov_b64_e32 v[134:135], 0                                // 000000004194: 7F0C7080
	v_mov_b64_e32 v[136:137], 0                                // 000000004198: 7F107080
	v_mov_b64_e32 v[138:139], 0                                // 00000000419C: 7F147080
	v_mov_b64_e32 v[140:141], 0                                // 0000000041A0: 7F187080
	v_mov_b64_e32 v[142:143], 0                                // 0000000041A4: 7F1C7080
	v_mov_b64_e32 v[144:145], 0                                // 0000000041A8: 7F207080
	v_mov_b64_e32 v[146:147], 0                                // 0000000041AC: 7F247080
	v_mov_b64_e32 v[148:149], 0                                // 0000000041B0: 7F287080
	v_mov_b64_e32 v[150:151], 0                                // 0000000041B4: 7F2C7080
	v_mov_b64_e32 v[152:153], 0                                // 0000000041B8: 7F307080
	v_mov_b64_e32 v[154:155], 0                                // 0000000041BC: 7F347080
	v_mov_b64_e32 v[156:157], 0                                // 0000000041C0: 7F387080
	v_mov_b64_e32 v[158:159], 0                                // 0000000041C4: 7F3C7080
	v_mov_b64_e32 v[160:161], 0                                // 0000000041C8: 7F407080
	v_mov_b64_e32 v[162:163], 0                                // 0000000041CC: 7F447080
	v_mov_b64_e32 v[164:165], 0                                // 0000000041D0: 7F487080
	v_mov_b64_e32 v[166:167], 0                                // 0000000041D4: 7F4C7080
	v_mov_b64_e32 v[168:169], 0                                // 0000000041D8: 7F507080
	v_mov_b64_e32 v[170:171], 0                                // 0000000041DC: 7F547080
	v_mov_b64_e32 v[172:173], 0                                // 0000000041E0: 7F587080
	v_mov_b64_e32 v[174:175], 0                                // 0000000041E4: 7F5C7080
	v_mov_b64_e32 v[176:177], 0                                // 0000000041E8: 7F607080
	v_mov_b64_e32 v[178:179], 0                                // 0000000041EC: 7F647080
	v_mov_b32_e32 v192, 0xff800000                             // 0000000041F0: 7F8002FF FF800000
	v_mov_b64_e32 v[188:189], 0                                // 0000000041F8: 7F787080
	v_mov_b64_e32 v[190:191], 0                                // 0000000041FC: 7F7C7080
	s_mov_b32 s68, 0                                           // 000000004200: BEC40080
	s_cmp_lt_i32 s62, 4                                        // 000000004204: BF04843E
	s_cbranch_scc0 label_19C8                                  // 000000004208: BF8404EF
	s_setprio 1                                                // 00000000420C: BF8F0001
	s_lshl_b32 s66, s42, 2                                     // 000000004210: 8E42822A
	v_add_u32_e32 v207, s66, v206                              // 000000004214: 699F9C42
	v_lshrrev_b32_e32 v180, 2, v207                            // 000000004218: 21699E82
	v_add_u32_e32 v207, 0x400, v207                            // 00000000421C: 699F9EFF 00000400
	v_mov_b32_e32 v203, v201                                   // 000000004224: 7F9603C9
	v_mov_b32_e32 v204, v202                                   // 000000004228: 7F9803CA
	s_add_u32 m0, s70, 0                                       // 00000000422C: 807C8046
	buffer_load_dwordx4 v203, s[8:11], 0 offen lds             // 000000004230: E05D1000 800200CB
	s_add_u32 m0, s70, 0x410                                   // 000000004238: 807CFF46 00000410
	buffer_load_dwordx4 v204, s[8:11], 0 offen lds             // 000000004240: E05D1000 800200CC
	s_add_u32 m0, s70, 0x1000                                  // 000000004248: 807CFF46 00001000
	buffer_load_dwordx4 v203, s[8:11], 0 offen offset:64 lds   // 000000004250: E05D1040 800200CB
	s_add_u32 m0, s70, 0x1410                                  // 000000004258: 807CFF46 00001410
	buffer_load_dwordx4 v204, s[8:11], 0 offen offset:64 lds   // 000000004260: E05D1040 800200CC
	s_sub_i32 s66, s59, s29                                    // 000000004268: 81C21D3B
	s_add_i32 s66, s66, s50                                    // 00000000426C: 81423242
	s_addk_i32 s66, 0x1                                        // 000000004270: B7420001
	v_add_u32_e32 v194, s66, v196                              // 000000004274: 69858842
	v_cmp_lt_i32_e64 vcc, v194, s43                            // 000000004278: D0C1006A 000057C2
	v_mov_b32_e32 v184, s43                                    // 000000004280: 7F70022B
	v_cndmask_b32_e32 v194, v184, v194, vcc                    // 000000004284: 018585B8
	s_cmp_lt_i32 s66, s43                                      // 000000004288: BF042B42
	s_cselect_b32 s66, s66, s43                                // 00000000428C: 85422B42
	s_and_b32 s69, s66, 0xffffff80                             // 000000004290: 8645FF42 FFFFFF80
	v_mov_b32_e32 v221, v220                                   // 000000004298: 7FBA03DC
	v_and_b32_e32 v184, 3, v0                                  // 00000000429C: 27700083
	v_lshlrev_b32_e32 v210, 4, v184                            // 0000000042A0: 25A57084
	s_waitcnt vmcnt(0)                                         // 0000000042A4: BF8C0F70
	v_mul_i32_i24_dpp v184, v180, v222 quad_perm:[0,0,0,0] row_mask:0xf bank_mask:0xf// 0000000042A8: 0D71BCFA FF0000B4
	v_mul_i32_i24_dpp v185, v180, v222 quad_perm:[1,1,1,1] row_mask:0xf bank_mask:0xf// 0000000042B0: 0D73BCFA FF0055B4
	v_add_u32_e32 v211, v210, v184                             // 0000000042B8: 69A771D2
	v_add_u32_e32 v212, v210, v185                             // 0000000042BC: 69A973D2
	s_add_u32 m0, s71, 0                                       // 0000000042C0: 807C8047
	buffer_load_dwordx4 v211, s[12:15], 0 offen lds            // 0000000042C4: E05D1000 800300D3
	s_add_u32 m0, s71, 0x410                                   // 0000000042CC: 807CFF47 00000410
	buffer_load_dwordx4 v212, s[12:15], 0 offen lds            // 0000000042D4: E05D1000 800300D4
	s_add_u32 m0, s71, 0x1000                                  // 0000000042DC: 807CFF47 00001000
	buffer_load_dwordx4 v211, s[12:15], 0 offen offset:64 lds  // 0000000042E4: E05D1040 800300D3
	s_add_u32 m0, s71, 0x1410                                  // 0000000042EC: 807CFF47 00001410
	buffer_load_dwordx4 v212, s[12:15], 0 offen offset:64 lds  // 0000000042F4: E05D1040 800300D4
	s_waitcnt vmcnt(0)                                         // 0000000042FC: BF8C0F70
	s_barrier                                                  // 000000004300: BF8A0000
	ds_read_b128 v[4:7], v205                                  // 000000004304: D9FE0000 040000CD
	ds_read_b128 v[8:11], v205 offset:32                       // 00000000430C: D9FE0020 080000CD
	ds_read_b128 v[12:15], v205 offset:4160                    // 000000004314: D9FE1040 0C0000CD
	ds_read_b128 v[16:19], v205 offset:4192                    // 00000000431C: D9FE1060 100000CD
	s_waitcnt vmcnt(0)                                         // 000000004324: BF8C0F70
	s_barrier                                                  // 000000004328: BF8A0000
	ds_read_b128 v[20:23], v218                                // 00000000432C: D9FE0000 140000DA
	ds_read_b128 v[24:27], v218 offset:32                      // 000000004334: D9FE0020 180000DA
	ds_read_b128 v[28:31], v218 offset:4160                    // 00000000433C: D9FE1040 1C0000DA
	ds_read_b128 v[32:35], v218 offset:4192                    // 000000004344: D9FE1060 200000DA

000000000000434c <label_074C>:
	s_cmp_lt_i32 s68, s69                                      // 00000000434C: BF044544
	s_cbranch_scc0 label_2DF4                                  // 000000004350: BF8409A8
	s_waitcnt lgkmcnt(2)                                       // 000000004354: BF8CC27F
	v_mfma_f32_32x32x64_f8f6f4 v[52:67], v[20:27], v[4:11], 0  // 000000004358: D3AE0034 02020914
	v_mul_i32_i24_dpp v184, v180, v222 quad_perm:[2,2,2,2] row_mask:0xf bank_mask:0xf// 000000004360: 0D71BCFA FF00AAB4
	v_mul_i32_i24_dpp v185, v180, v222 quad_perm:[3,3,3,3] row_mask:0xf bank_mask:0xf// 000000004368: 0D73BCFA FF00FFB4
	v_add_u32_e32 v211, v210, v184                             // 000000004370: 69A771D2
	v_add_u32_e32 v212, v210, v185                             // 000000004374: 69A973D2
	ds_read_b128 v[36:39], v218 offset:512                     // 000000004378: D9FE0200 240000DA
	ds_read_b128 v[40:43], v218 offset:544                     // 000000004380: D9FE0220 280000DA
	s_waitcnt lgkmcnt(2)                                       // 000000004388: BF8CC27F
	v_mfma_f32_32x32x64_f8f6f4 v[52:67], v[28:35], v[12:19], v[52:67]// 00000000438C: D3AE0034 04D2191C
	s_add_u32 m0, s71, 0x4100                                  // 000000004394: 807CFF47 00004100
	buffer_load_dwordx4 v211, s[12:15], 0 offen lds            // 00000000439C: E05D1000 800300D3
	ds_read_b128 v[44:47], v218 offset:4672                    // 0000000043A4: D9FE1240 2C0000DA
	ds_read_b128 v[48:51], v218 offset:4704                    // 0000000043AC: D9FE1260 300000DA
	s_waitcnt lgkmcnt(2)                                       // 0000000043B4: BF8CC27F
	v_mfma_f32_32x32x64_f8f6f4 v[68:83], v[36:43], v[4:11], 0  // 0000000043B8: D3AE0044 02020924
	s_add_u32 m0, s71, 0x4510                                  // 0000000043C0: 807CFF47 00004510
	buffer_load_dwordx4 v212, s[12:15], 0 offen lds            // 0000000043C8: E05D1000 800300D4
	ds_read_b128 v[20:23], v218 offset:8320                    // 0000000043D0: D9FE2080 140000DA
	ds_read_b128 v[24:27], v218 offset:8352                    // 0000000043D8: D9FE20A0 180000DA
	s_waitcnt lgkmcnt(2)                                       // 0000000043E0: BF8CC27F
	v_mfma_f32_32x32x64_f8f6f4 v[68:83], v[44:51], v[12:19], v[68:83]// 0000000043E4: D3AE0044 0512192C
	s_add_u32 m0, s71, 0x5100                                  // 0000000043EC: 807CFF47 00005100
	buffer_load_dwordx4 v211, s[12:15], 0 offen offset:64 lds  // 0000000043F4: E05D1040 800300D3
	ds_read_b128 v[28:31], v218 offset:12480                   // 0000000043FC: D9FE30C0 1C0000DA
	ds_read_b128 v[32:35], v218 offset:12512                   // 000000004404: D9FE30E0 200000DA
	s_waitcnt lgkmcnt(2)                                       // 00000000440C: BF8CC27F
	v_mfma_f32_32x32x64_f8f6f4 v[84:99], v[20:27], v[4:11], 0  // 000000004410: D3AE0054 02020914
	s_add_u32 m0, s71, 0x5510                                  // 000000004418: 807CFF47 00005510
	buffer_load_dwordx4 v212, s[12:15], 0 offen offset:64 lds  // 000000004420: E05D1040 800300D4
	ds_read_b128 v[36:39], v218 offset:8832                    // 000000004428: D9FE2280 240000DA
	ds_read_b128 v[40:43], v218 offset:8864                    // 000000004430: D9FE22A0 280000DA
	s_waitcnt lgkmcnt(2)                                       // 000000004438: BF8CC27F
	v_mfma_f32_32x32x64_f8f6f4 v[84:99], v[28:35], v[12:19], v[84:99]// 00000000443C: D3AE0054 0552191C
	v_lshrrev_b32_e32 v180, 2, v207                            // 000000004444: 21699E82
	v_add_u32_e32 v207, 0x400, v207                            // 000000004448: 699F9EFF 00000400
	ds_read_b128 v[44:47], v218 offset:12992                   // 000000004450: D9FE32C0 2C0000DA
	ds_read_b128 v[48:51], v218 offset:13024                   // 000000004458: D9FE32E0 300000DA
	s_waitcnt lgkmcnt(2)                                       // 000000004460: BF8CC27F
	v_mfma_f32_32x32x64_f8f6f4 v[100:115], v[36:43], v[4:11], 0// 000000004464: D3AE0064 02020924
	s_barrier                                                  // 00000000446C: BF8A0000
	ds_read_b64_tr_b8 v[20:21], v219                           // 000000004470: D9C40000 140000DB
	ds_read_b64_tr_b8 v[22:23], v219 offset:256                // 000000004478: D9C40100 160000DB
	ds_read_b64_tr_b8 v[24:25], v219 offset:512                // 000000004480: D9C40200 180000DB
	ds_read_b64_tr_b8 v[26:27], v219 offset:768                // 000000004488: D9C40300 1A0000DB
	s_waitcnt lgkmcnt(4)                                       // 000000004490: BF8CC47F
	v_mfma_f32_32x32x64_f8f6f4 v[100:115], v[44:51], v[12:19], v[100:115]// 000000004494: D3AE0064 0592192C
	ds_read_b64_tr_b8 v[28:29], v219 offset:8320               // 00000000449C: D9C42080 1C0000DB
	ds_read_b64_tr_b8 v[30:31], v219 offset:8576               // 0000000044A4: D9C42180 1E0000DB
	ds_read_b64_tr_b8 v[32:33], v219 offset:8832               // 0000000044AC: D9C42280 200000DB
	ds_read_b64_tr_b8 v[34:35], v219 offset:9088               // 0000000044B4: D9C42380 220000DB
	s_nop 5                                                    // 0000000044BC: BF800005
	s_barrier                                                  // 0000000044C0: BF8A0000
	s_setprio 0                                                // 0000000044C4: BF8F0000
	s_barrier                                                  // 0000000044C8: BF8A0000
	v_mov_b32_e32 v193, v192                                   // 0000000044CC: 7F8203C0
	v_max3_f32 v193, v52, v53, v193                            // 0000000044D0: D1D300C1 07066B34
	v_max3_f32 v193, v54, v55, v193                            // 0000000044D8: D1D300C1 07066F36
	v_max3_f32 v193, v56, v57, v193                            // 0000000044E0: D1D300C1 07067338
	v_max3_f32 v193, v58, v59, v193                            // 0000000044E8: D1D300C1 0706773A
	v_max3_f32 v193, v60, v61, v193                            // 0000000044F0: D1D300C1 07067B3C
	v_max3_f32 v193, v62, v63, v193                            // 0000000044F8: D1D300C1 07067F3E
	v_max3_f32 v193, v64, v65, v193                            // 000000004500: D1D300C1 07068340
	v_max3_f32 v193, v66, v67, v193                            // 000000004508: D1D300C1 07068742
	v_max3_f32 v193, v68, v69, v193                            // 000000004510: D1D300C1 07068B44
	v_max3_f32 v193, v70, v71, v193                            // 000000004518: D1D300C1 07068F46
	v_max3_f32 v193, v72, v73, v193                            // 000000004520: D1D300C1 07069348
	v_max3_f32 v193, v74, v75, v193                            // 000000004528: D1D300C1 0706974A
	v_max3_f32 v193, v76, v77, v193                            // 000000004530: D1D300C1 07069B4C
	v_max3_f32 v193, v78, v79, v193                            // 000000004538: D1D300C1 07069F4E
	v_max3_f32 v193, v80, v81, v193                            // 000000004540: D1D300C1 0706A350
	v_max3_f32 v193, v82, v83, v193                            // 000000004548: D1D300C1 0706A752
	v_max3_f32 v193, v84, v85, v193                            // 000000004550: D1D300C1 0706AB54
	v_max3_f32 v193, v86, v87, v193                            // 000000004558: D1D300C1 0706AF56
	v_max3_f32 v193, v88, v89, v193                            // 000000004560: D1D300C1 0706B358
	v_max3_f32 v193, v90, v91, v193                            // 000000004568: D1D300C1 0706B75A
	v_max3_f32 v193, v92, v93, v193                            // 000000004570: D1D300C1 0706BB5C
	v_max3_f32 v193, v94, v95, v193                            // 000000004578: D1D300C1 0706BF5E
	v_max3_f32 v193, v96, v97, v193                            // 000000004580: D1D300C1 0706C360
	v_max3_f32 v193, v98, v99, v193                            // 000000004588: D1D300C1 0706C762
	v_max3_f32 v193, v100, v101, v193                          // 000000004590: D1D300C1 0706CB64
	v_max3_f32 v193, v102, v103, v193                          // 000000004598: D1D300C1 0706CF66
	v_max3_f32 v193, v104, v105, v193                          // 0000000045A0: D1D300C1 0706D368
	v_max3_f32 v193, v106, v107, v193                          // 0000000045A8: D1D300C1 0706D76A
	v_max3_f32 v193, v108, v109, v193                          // 0000000045B0: D1D300C1 0706DB6C
	v_max3_f32 v193, v110, v111, v193                          // 0000000045B8: D1D300C1 0706DF6E
	v_max3_f32 v193, v112, v113, v193                          // 0000000045C0: D1D300C1 0706E370
	v_max3_f32 v193, v114, v115, v193                          // 0000000045C8: D1D300C1 0706E772
	v_mov_b32_e32 v184, v193                                   // 0000000045D0: 7F7003C1
	s_nop 1                                                    // 0000000045D4: BF800001
	s_nop 0                                                    // 0000000045D8: BF800000
	v_permlane32_swap_b32_e32 v184, v193                       // 0000000045DC: 7F70B5C1
	v_max_f32_e32 v193, v193, v184                             // 0000000045E0: 178371C1
	v_cmp_eq_u32_e64 s[66:67], v197, v193                      // 0000000045E4: D0CA0042 000383C5
	s_nop 0                                                    // 0000000045EC: BF800000
	v_cndmask_b32_e64 v193, v193, 0, s[66:67]                  // 0000000045F0: D10000C1 010901C1
	v_mul_f32_e64 v184, -s26, v193                             // 0000000045F8: D10500B8 2003821A
	v_mov_b32_e32 v185, v184                                   // 000000004600: 7F7203B8
	v_pk_fma_f32 v[52:53], v[52:53], s[26:27], v[184:185]      // 000000004604: D3B04034 1EE03534
	v_pk_fma_f32 v[54:55], v[54:55], s[26:27], v[184:185]      // 00000000460C: D3B04036 1EE03536
	v_pk_fma_f32 v[56:57], v[56:57], s[26:27], v[184:185]      // 000000004614: D3B04038 1EE03538
	v_pk_fma_f32 v[58:59], v[58:59], s[26:27], v[184:185]      // 00000000461C: D3B0403A 1EE0353A
	v_pk_fma_f32 v[60:61], v[60:61], s[26:27], v[184:185]      // 000000004624: D3B0403C 1EE0353C
	v_pk_fma_f32 v[62:63], v[62:63], s[26:27], v[184:185]      // 00000000462C: D3B0403E 1EE0353E
	v_pk_fma_f32 v[64:65], v[64:65], s[26:27], v[184:185]      // 000000004634: D3B04040 1EE03540
	v_pk_fma_f32 v[66:67], v[66:67], s[26:27], v[184:185]      // 00000000463C: D3B04042 1EE03542
	v_pk_fma_f32 v[68:69], v[68:69], s[26:27], v[184:185]      // 000000004644: D3B04044 1EE03544
	v_pk_fma_f32 v[70:71], v[70:71], s[26:27], v[184:185]      // 00000000464C: D3B04046 1EE03546
	v_pk_fma_f32 v[72:73], v[72:73], s[26:27], v[184:185]      // 000000004654: D3B04048 1EE03548
	v_pk_fma_f32 v[74:75], v[74:75], s[26:27], v[184:185]      // 00000000465C: D3B0404A 1EE0354A
	v_pk_fma_f32 v[76:77], v[76:77], s[26:27], v[184:185]      // 000000004664: D3B0404C 1EE0354C
	v_pk_fma_f32 v[78:79], v[78:79], s[26:27], v[184:185]      // 00000000466C: D3B0404E 1EE0354E
	v_pk_fma_f32 v[80:81], v[80:81], s[26:27], v[184:185]      // 000000004674: D3B04050 1EE03550
	v_pk_fma_f32 v[82:83], v[82:83], s[26:27], v[184:185]      // 00000000467C: D3B04052 1EE03552
	v_pk_fma_f32 v[84:85], v[84:85], s[26:27], v[184:185]      // 000000004684: D3B04054 1EE03554
	v_pk_fma_f32 v[86:87], v[86:87], s[26:27], v[184:185]      // 00000000468C: D3B04056 1EE03556
	v_pk_fma_f32 v[88:89], v[88:89], s[26:27], v[184:185]      // 000000004694: D3B04058 1EE03558
	v_pk_fma_f32 v[90:91], v[90:91], s[26:27], v[184:185]      // 00000000469C: D3B0405A 1EE0355A
	v_pk_fma_f32 v[92:93], v[92:93], s[26:27], v[184:185]      // 0000000046A4: D3B0405C 1EE0355C
	v_pk_fma_f32 v[94:95], v[94:95], s[26:27], v[184:185]      // 0000000046AC: D3B0405E 1EE0355E
	v_pk_fma_f32 v[96:97], v[96:97], s[26:27], v[184:185]      // 0000000046B4: D3B04060 1EE03560
	v_pk_fma_f32 v[98:99], v[98:99], s[26:27], v[184:185]      // 0000000046BC: D3B04062 1EE03562
	v_pk_fma_f32 v[100:101], v[100:101], s[26:27], v[184:185]  // 0000000046C4: D3B04064 1EE03564
	v_pk_fma_f32 v[102:103], v[102:103], s[26:27], v[184:185]  // 0000000046CC: D3B04066 1EE03566
	v_pk_fma_f32 v[104:105], v[104:105], s[26:27], v[184:185]  // 0000000046D4: D3B04068 1EE03568
	v_pk_fma_f32 v[106:107], v[106:107], s[26:27], v[184:185]  // 0000000046DC: D3B0406A 1EE0356A
	v_pk_fma_f32 v[108:109], v[108:109], s[26:27], v[184:185]  // 0000000046E4: D3B0406C 1EE0356C
	v_pk_fma_f32 v[110:111], v[110:111], s[26:27], v[184:185]  // 0000000046EC: D3B0406E 1EE0356E
	v_pk_fma_f32 v[112:113], v[112:113], s[26:27], v[184:185]  // 0000000046F4: D3B04070 1EE03570
	v_pk_fma_f32 v[114:115], v[114:115], s[26:27], v[184:185]  // 0000000046FC: D3B04072 1EE03572
	s_barrier                                                  // 000000004704: BF8A0000
	v_exp_f32_e32 v52, v52                                     // 000000004708: 7E684134
	v_exp_f32_e32 v53, v53                                     // 00000000470C: 7E6A4135
	v_exp_f32_e32 v54, v54                                     // 000000004710: 7E6C4136
	v_exp_f32_e32 v55, v55                                     // 000000004714: 7E6E4137
	v_exp_f32_e32 v56, v56                                     // 000000004718: 7E704138
	v_exp_f32_e32 v57, v57                                     // 00000000471C: 7E724139
	v_exp_f32_e32 v58, v58                                     // 000000004720: 7E74413A
	v_exp_f32_e32 v59, v59                                     // 000000004724: 7E76413B
	v_exp_f32_e32 v60, v60                                     // 000000004728: 7E78413C
	v_exp_f32_e32 v61, v61                                     // 00000000472C: 7E7A413D
	v_exp_f32_e32 v62, v62                                     // 000000004730: 7E7C413E
	v_exp_f32_e32 v63, v63                                     // 000000004734: 7E7E413F
	v_exp_f32_e32 v64, v64                                     // 000000004738: 7E804140
	v_exp_f32_e32 v65, v65                                     // 00000000473C: 7E824141
	v_exp_f32_e32 v66, v66                                     // 000000004740: 7E844142
	v_exp_f32_e32 v67, v67                                     // 000000004744: 7E864143
	v_exp_f32_e32 v68, v68                                     // 000000004748: 7E884144
	v_exp_f32_e32 v69, v69                                     // 00000000474C: 7E8A4145
	v_exp_f32_e32 v70, v70                                     // 000000004750: 7E8C4146
	v_exp_f32_e32 v71, v71                                     // 000000004754: 7E8E4147
	v_exp_f32_e32 v72, v72                                     // 000000004758: 7E904148
	v_exp_f32_e32 v73, v73                                     // 00000000475C: 7E924149
	v_exp_f32_e32 v74, v74                                     // 000000004760: 7E94414A
	v_exp_f32_e32 v75, v75                                     // 000000004764: 7E96414B
	v_exp_f32_e32 v76, v76                                     // 000000004768: 7E98414C
	v_exp_f32_e32 v77, v77                                     // 00000000476C: 7E9A414D
	v_exp_f32_e32 v78, v78                                     // 000000004770: 7E9C414E
	v_exp_f32_e32 v79, v79                                     // 000000004774: 7E9E414F
	v_exp_f32_e32 v80, v80                                     // 000000004778: 7EA04150
	v_exp_f32_e32 v81, v81                                     // 00000000477C: 7EA24151
	v_exp_f32_e32 v82, v82                                     // 000000004780: 7EA44152
	v_exp_f32_e32 v83, v83                                     // 000000004784: 7EA64153
	v_exp_f32_e32 v84, v84                                     // 000000004788: 7EA84154
	v_exp_f32_e32 v85, v85                                     // 00000000478C: 7EAA4155
	v_exp_f32_e32 v86, v86                                     // 000000004790: 7EAC4156
	v_exp_f32_e32 v87, v87                                     // 000000004794: 7EAE4157
	v_exp_f32_e32 v88, v88                                     // 000000004798: 7EB04158
	v_exp_f32_e32 v89, v89                                     // 00000000479C: 7EB24159
	v_exp_f32_e32 v90, v90                                     // 0000000047A0: 7EB4415A
	v_exp_f32_e32 v91, v91                                     // 0000000047A4: 7EB6415B
	v_exp_f32_e32 v92, v92                                     // 0000000047A8: 7EB8415C
	v_exp_f32_e32 v93, v93                                     // 0000000047AC: 7EBA415D
	v_exp_f32_e32 v94, v94                                     // 0000000047B0: 7EBC415E
	v_exp_f32_e32 v95, v95                                     // 0000000047B4: 7EBE415F
	v_exp_f32_e32 v96, v96                                     // 0000000047B8: 7EC04160
	v_exp_f32_e32 v97, v97                                     // 0000000047BC: 7EC24161
	v_exp_f32_e32 v98, v98                                     // 0000000047C0: 7EC44162
	v_exp_f32_e32 v99, v99                                     // 0000000047C4: 7EC64163
	v_exp_f32_e32 v100, v100                                   // 0000000047C8: 7EC84164
	v_exp_f32_e32 v101, v101                                   // 0000000047CC: 7ECA4165
	v_exp_f32_e32 v102, v102                                   // 0000000047D0: 7ECC4166
	v_exp_f32_e32 v103, v103                                   // 0000000047D4: 7ECE4167
	v_exp_f32_e32 v104, v104                                   // 0000000047D8: 7ED04168
	v_exp_f32_e32 v105, v105                                   // 0000000047DC: 7ED24169
	v_exp_f32_e32 v106, v106                                   // 0000000047E0: 7ED4416A
	v_exp_f32_e32 v107, v107                                   // 0000000047E4: 7ED6416B
	v_exp_f32_e32 v108, v108                                   // 0000000047E8: 7ED8416C
	v_exp_f32_e32 v109, v109                                   // 0000000047EC: 7EDA416D
	v_exp_f32_e32 v110, v110                                   // 0000000047F0: 7EDC416E
	v_exp_f32_e32 v111, v111                                   // 0000000047F4: 7EDE416F
	v_exp_f32_e32 v112, v112                                   // 0000000047F8: 7EE04170
	v_exp_f32_e32 v113, v113                                   // 0000000047FC: 7EE24171
	v_exp_f32_e32 v114, v114                                   // 000000004800: 7EE44172
	v_exp_f32_e32 v115, v115                                   // 000000004804: 7EE64173
	v_sub_f32_e32 v188, v192, v193                             // 000000004808: 057983C0
	v_cmp_eq_u32_e64 s[66:67], v197, v192                      // 00000000480C: D0CA0042 000381C5
	s_nop 0                                                    // 000000004814: BF800000
	v_cndmask_b32_e64 v188, v188, 0, s[66:67]                  // 000000004818: D10000BC 010901BC
	v_mov_b32_e32 v192, v193                                   // 000000004820: 7F8003C1
	v_mul_f32_e32 v188, s26, v188                              // 000000004824: 0B79781A
	v_exp_f32_e32 v188, v188                                   // 000000004828: 7F7841BC
	s_nop 0                                                    // 00000000482C: BF800000
	v_mul_f32_e32 v190, v188, v190                             // 000000004830: 0B7D7DBC
	v_add_f32_e32 v190, v52, v190                              // 000000004834: 037D7D34
	v_add_f32_e32 v190, v53, v190                              // 000000004838: 037D7D35
	v_add_f32_e32 v190, v54, v190                              // 00000000483C: 037D7D36
	v_add_f32_e32 v190, v55, v190                              // 000000004840: 037D7D37
	v_add_f32_e32 v190, v56, v190                              // 000000004844: 037D7D38
	v_add_f32_e32 v190, v57, v190                              // 000000004848: 037D7D39
	v_add_f32_e32 v190, v58, v190                              // 00000000484C: 037D7D3A
	v_add_f32_e32 v190, v59, v190                              // 000000004850: 037D7D3B
	v_add_f32_e32 v190, v60, v190                              // 000000004854: 037D7D3C
	v_add_f32_e32 v190, v61, v190                              // 000000004858: 037D7D3D
	v_add_f32_e32 v190, v62, v190                              // 00000000485C: 037D7D3E
	v_add_f32_e32 v190, v63, v190                              // 000000004860: 037D7D3F
	v_add_f32_e32 v190, v64, v190                              // 000000004864: 037D7D40
	v_add_f32_e32 v190, v65, v190                              // 000000004868: 037D7D41
	v_add_f32_e32 v190, v66, v190                              // 00000000486C: 037D7D42
	v_add_f32_e32 v190, v67, v190                              // 000000004870: 037D7D43
	v_add_f32_e32 v190, v68, v190                              // 000000004874: 037D7D44
	v_add_f32_e32 v190, v69, v190                              // 000000004878: 037D7D45
	v_add_f32_e32 v190, v70, v190                              // 00000000487C: 037D7D46
	v_add_f32_e32 v190, v71, v190                              // 000000004880: 037D7D47
	v_add_f32_e32 v190, v72, v190                              // 000000004884: 037D7D48
	v_add_f32_e32 v190, v73, v190                              // 000000004888: 037D7D49
	v_add_f32_e32 v190, v74, v190                              // 00000000488C: 037D7D4A
	v_add_f32_e32 v190, v75, v190                              // 000000004890: 037D7D4B
	v_add_f32_e32 v190, v76, v190                              // 000000004894: 037D7D4C
	v_add_f32_e32 v190, v77, v190                              // 000000004898: 037D7D4D
	v_add_f32_e32 v190, v78, v190                              // 00000000489C: 037D7D4E
	v_add_f32_e32 v190, v79, v190                              // 0000000048A0: 037D7D4F
	v_add_f32_e32 v190, v80, v190                              // 0000000048A4: 037D7D50
	v_add_f32_e32 v190, v81, v190                              // 0000000048A8: 037D7D51
	v_add_f32_e32 v190, v82, v190                              // 0000000048AC: 037D7D52
	v_add_f32_e32 v190, v83, v190                              // 0000000048B0: 037D7D53
	v_add_f32_e32 v190, v84, v190                              // 0000000048B4: 037D7D54
	v_add_f32_e32 v190, v85, v190                              // 0000000048B8: 037D7D55
	v_add_f32_e32 v190, v86, v190                              // 0000000048BC: 037D7D56
	v_add_f32_e32 v190, v87, v190                              // 0000000048C0: 037D7D57
	v_add_f32_e32 v190, v88, v190                              // 0000000048C4: 037D7D58
	v_add_f32_e32 v190, v89, v190                              // 0000000048C8: 037D7D59
	v_add_f32_e32 v190, v90, v190                              // 0000000048CC: 037D7D5A
	v_add_f32_e32 v190, v91, v190                              // 0000000048D0: 037D7D5B
	v_add_f32_e32 v190, v92, v190                              // 0000000048D4: 037D7D5C
	v_add_f32_e32 v190, v93, v190                              // 0000000048D8: 037D7D5D
	v_add_f32_e32 v190, v94, v190                              // 0000000048DC: 037D7D5E
	v_add_f32_e32 v190, v95, v190                              // 0000000048E0: 037D7D5F
	v_add_f32_e32 v190, v96, v190                              // 0000000048E4: 037D7D60
	v_add_f32_e32 v190, v97, v190                              // 0000000048E8: 037D7D61
	v_add_f32_e32 v190, v98, v190                              // 0000000048EC: 037D7D62
	v_add_f32_e32 v190, v99, v190                              // 0000000048F0: 037D7D63
	v_add_f32_e32 v190, v100, v190                             // 0000000048F4: 037D7D64
	v_add_f32_e32 v190, v101, v190                             // 0000000048F8: 037D7D65
	v_add_f32_e32 v190, v102, v190                             // 0000000048FC: 037D7D66
	v_add_f32_e32 v190, v103, v190                             // 000000004900: 037D7D67
	v_add_f32_e32 v190, v104, v190                             // 000000004904: 037D7D68
	v_add_f32_e32 v190, v105, v190                             // 000000004908: 037D7D69
	v_add_f32_e32 v190, v106, v190                             // 00000000490C: 037D7D6A
	v_add_f32_e32 v190, v107, v190                             // 000000004910: 037D7D6B
	v_add_f32_e32 v190, v108, v190                             // 000000004914: 037D7D6C
	v_add_f32_e32 v190, v109, v190                             // 000000004918: 037D7D6D
	v_add_f32_e32 v190, v110, v190                             // 00000000491C: 037D7D6E
	v_add_f32_e32 v190, v111, v190                             // 000000004920: 037D7D6F
	v_add_f32_e32 v190, v112, v190                             // 000000004924: 037D7D70
	v_add_f32_e32 v190, v113, v190                             // 000000004928: 037D7D71
	v_add_f32_e32 v190, v114, v190                             // 00000000492C: 037D7D72
	v_add_f32_e32 v190, v115, v190                             // 000000004930: 037D7D73
	v_mul_f32_e32 v116, v188, v116                             // 000000004934: 0AE8E9BC
	v_mul_f32_e32 v117, v188, v117                             // 000000004938: 0AEAEBBC
	v_mul_f32_e32 v118, v188, v118                             // 00000000493C: 0AECEDBC
	v_mul_f32_e32 v119, v188, v119                             // 000000004940: 0AEEEFBC
	v_mul_f32_e32 v120, v188, v120                             // 000000004944: 0AF0F1BC
	v_mul_f32_e32 v121, v188, v121                             // 000000004948: 0AF2F3BC
	v_mul_f32_e32 v122, v188, v122                             // 00000000494C: 0AF4F5BC
	v_mul_f32_e32 v123, v188, v123                             // 000000004950: 0AF6F7BC
	v_mul_f32_e32 v124, v188, v124                             // 000000004954: 0AF8F9BC
	v_mul_f32_e32 v125, v188, v125                             // 000000004958: 0AFAFBBC
	v_mul_f32_e32 v126, v188, v126                             // 00000000495C: 0AFCFDBC
	v_mul_f32_e32 v127, v188, v127                             // 000000004960: 0AFEFFBC
	v_mul_f32_e32 v128, v188, v128                             // 000000004964: 0B0101BC
	v_mul_f32_e32 v129, v188, v129                             // 000000004968: 0B0303BC
	v_mul_f32_e32 v130, v188, v130                             // 00000000496C: 0B0505BC
	v_mul_f32_e32 v131, v188, v131                             // 000000004970: 0B0707BC
	v_mul_f32_e32 v132, v188, v132                             // 000000004974: 0B0909BC
	v_mul_f32_e32 v133, v188, v133                             // 000000004978: 0B0B0BBC
	v_mul_f32_e32 v134, v188, v134                             // 00000000497C: 0B0D0DBC
	v_mul_f32_e32 v135, v188, v135                             // 000000004980: 0B0F0FBC
	v_mul_f32_e32 v136, v188, v136                             // 000000004984: 0B1111BC
	v_mul_f32_e32 v137, v188, v137                             // 000000004988: 0B1313BC
	v_mul_f32_e32 v138, v188, v138                             // 00000000498C: 0B1515BC
	v_mul_f32_e32 v139, v188, v139                             // 000000004990: 0B1717BC
	v_mul_f32_e32 v140, v188, v140                             // 000000004994: 0B1919BC
	v_mul_f32_e32 v141, v188, v141                             // 000000004998: 0B1B1BBC
	v_mul_f32_e32 v142, v188, v142                             // 00000000499C: 0B1D1DBC
	v_mul_f32_e32 v143, v188, v143                             // 0000000049A0: 0B1F1FBC
	v_mul_f32_e32 v144, v188, v144                             // 0000000049A4: 0B2121BC
	v_mul_f32_e32 v145, v188, v145                             // 0000000049A8: 0B2323BC
	v_mul_f32_e32 v146, v188, v146                             // 0000000049AC: 0B2525BC
	v_mul_f32_e32 v147, v188, v147                             // 0000000049B0: 0B2727BC
	v_mul_f32_e32 v148, v188, v148                             // 0000000049B4: 0B2929BC
	v_mul_f32_e32 v149, v188, v149                             // 0000000049B8: 0B2B2BBC
	v_mul_f32_e32 v150, v188, v150                             // 0000000049BC: 0B2D2DBC
	v_mul_f32_e32 v151, v188, v151                             // 0000000049C0: 0B2F2FBC
	v_mul_f32_e32 v152, v188, v152                             // 0000000049C4: 0B3131BC
	v_mul_f32_e32 v153, v188, v153                             // 0000000049C8: 0B3333BC
	v_mul_f32_e32 v154, v188, v154                             // 0000000049CC: 0B3535BC
	v_mul_f32_e32 v155, v188, v155                             // 0000000049D0: 0B3737BC
	v_mul_f32_e32 v156, v188, v156                             // 0000000049D4: 0B3939BC
	v_mul_f32_e32 v157, v188, v157                             // 0000000049D8: 0B3B3BBC
	v_mul_f32_e32 v158, v188, v158                             // 0000000049DC: 0B3D3DBC
	v_mul_f32_e32 v159, v188, v159                             // 0000000049E0: 0B3F3FBC
	v_mul_f32_e32 v160, v188, v160                             // 0000000049E4: 0B4141BC
	v_mul_f32_e32 v161, v188, v161                             // 0000000049E8: 0B4343BC
	v_mul_f32_e32 v162, v188, v162                             // 0000000049EC: 0B4545BC
	v_mul_f32_e32 v163, v188, v163                             // 0000000049F0: 0B4747BC
	v_mul_f32_e32 v164, v188, v164                             // 0000000049F4: 0B4949BC
	v_mul_f32_e32 v165, v188, v165                             // 0000000049F8: 0B4B4BBC
	v_mul_f32_e32 v166, v188, v166                             // 0000000049FC: 0B4D4DBC
	v_mul_f32_e32 v167, v188, v167                             // 000000004A00: 0B4F4FBC
	v_mul_f32_e32 v168, v188, v168                             // 000000004A04: 0B5151BC
	v_mul_f32_e32 v169, v188, v169                             // 000000004A08: 0B5353BC
	v_mul_f32_e32 v170, v188, v170                             // 000000004A0C: 0B5555BC
	v_mul_f32_e32 v171, v188, v171                             // 000000004A10: 0B5757BC
	v_mul_f32_e32 v172, v188, v172                             // 000000004A14: 0B5959BC
	v_mul_f32_e32 v173, v188, v173                             // 000000004A18: 0B5B5BBC
	v_mul_f32_e32 v174, v188, v174                             // 000000004A1C: 0B5D5DBC
	v_mul_f32_e32 v175, v188, v175                             // 000000004A20: 0B5F5FBC
	v_mul_f32_e32 v176, v188, v176                             // 000000004A24: 0B6161BC
	v_mul_f32_e32 v177, v188, v177                             // 000000004A28: 0B6363BC
	v_mul_f32_e32 v178, v188, v178                             // 000000004A2C: 0B6565BC
	v_mul_f32_e32 v179, v188, v179                             // 000000004A30: 0B6767BC
	v_mov_b32_e32 v189, v188                                   // 000000004A34: 7F7A03BC
	s_barrier                                                  // 000000004A38: BF8A0000
	v_cvt_pk_fp8_f32 v52, v52, v53                             // 000000004A3C: D2A20034 00026B34
	v_cvt_pk_fp8_f32 v52, v54, v55 op_sel:[0,0,1]              // 000000004A44: D2A24034 00026F36
	v_cvt_pk_fp8_f32 v53, v56, v57                             // 000000004A4C: D2A20035 00027338
	v_cvt_pk_fp8_f32 v53, v58, v59 op_sel:[0,0,1]              // 000000004A54: D2A24035 0002773A
	v_cvt_pk_fp8_f32 v54, v60, v61                             // 000000004A5C: D2A20036 00027B3C
	v_cvt_pk_fp8_f32 v54, v62, v63 op_sel:[0,0,1]              // 000000004A64: D2A24036 00027F3E
	v_cvt_pk_fp8_f32 v55, v64, v65                             // 000000004A6C: D2A20037 00028340
	v_cvt_pk_fp8_f32 v55, v66, v67 op_sel:[0,0,1]              // 000000004A74: D2A24037 00028742
	v_cvt_pk_fp8_f32 v56, v68, v69                             // 000000004A7C: D2A20038 00028B44
	v_cvt_pk_fp8_f32 v56, v70, v71 op_sel:[0,0,1]              // 000000004A84: D2A24038 00028F46
	v_cvt_pk_fp8_f32 v57, v72, v73                             // 000000004A8C: D2A20039 00029348
	v_cvt_pk_fp8_f32 v57, v74, v75 op_sel:[0,0,1]              // 000000004A94: D2A24039 0002974A
	v_cvt_pk_fp8_f32 v58, v76, v77                             // 000000004A9C: D2A2003A 00029B4C
	v_cvt_pk_fp8_f32 v58, v78, v79 op_sel:[0,0,1]              // 000000004AA4: D2A2403A 00029F4E
	v_cvt_pk_fp8_f32 v59, v80, v81                             // 000000004AAC: D2A2003B 0002A350
	v_cvt_pk_fp8_f32 v59, v82, v83 op_sel:[0,0,1]              // 000000004AB4: D2A2403B 0002A752
	v_cvt_pk_fp8_f32 v60, v84, v85                             // 000000004ABC: D2A2003C 0002AB54
	v_cvt_pk_fp8_f32 v60, v86, v87 op_sel:[0,0,1]              // 000000004AC4: D2A2403C 0002AF56
	v_cvt_pk_fp8_f32 v61, v88, v89                             // 000000004ACC: D2A2003D 0002B358
	v_cvt_pk_fp8_f32 v61, v90, v91 op_sel:[0,0,1]              // 000000004AD4: D2A2403D 0002B75A
	v_cvt_pk_fp8_f32 v62, v92, v93                             // 000000004ADC: D2A2003E 0002BB5C
	v_cvt_pk_fp8_f32 v62, v94, v95 op_sel:[0,0,1]              // 000000004AE4: D2A2403E 0002BF5E
	v_cvt_pk_fp8_f32 v63, v96, v97                             // 000000004AEC: D2A2003F 0002C360
	v_cvt_pk_fp8_f32 v63, v98, v99 op_sel:[0,0,1]              // 000000004AF4: D2A2403F 0002C762
	v_cvt_pk_fp8_f32 v64, v100, v101                           // 000000004AFC: D2A20040 0002CB64
	v_cvt_pk_fp8_f32 v64, v102, v103 op_sel:[0,0,1]            // 000000004B04: D2A24040 0002CF66
	v_cvt_pk_fp8_f32 v65, v104, v105                           // 000000004B0C: D2A20041 0002D368
	v_cvt_pk_fp8_f32 v65, v106, v107 op_sel:[0,0,1]            // 000000004B14: D2A24041 0002D76A
	v_cvt_pk_fp8_f32 v66, v108, v109                           // 000000004B1C: D2A20042 0002DB6C
	v_cvt_pk_fp8_f32 v66, v110, v111 op_sel:[0,0,1]            // 000000004B24: D2A24042 0002DF6E
	v_cvt_pk_fp8_f32 v67, v112, v113                           // 000000004B2C: D2A20043 0002E370
	v_cvt_pk_fp8_f32 v67, v114, v115 op_sel:[0,0,1]            // 000000004B34: D2A24043 0002E772
	s_barrier                                                  // 000000004B3C: BF8A0000
	s_waitcnt vmcnt(0)                                         // 000000004B40: BF8C0F70
	s_waitcnt lgkmcnt(8)                                       // 000000004B44: BF8CC87F
	s_setprio 1                                                // 000000004B48: BF8F0001
	s_barrier                                                  // 000000004B4C: BF8A0000
	v_mfma_f32_32x32x64_f8f6f4 v[116:131], v[20:27], v[52:59], v[116:131]// 000000004B50: D3AE0074 05D26914
	ds_read_b64_tr_b8 v[36:37], v219 offset:32                 // 000000004B58: D9C40020 240000DB
	ds_read_b64_tr_b8 v[38:39], v219 offset:288                // 000000004B60: D9C40120 260000DB
	ds_read_b64_tr_b8 v[40:41], v219 offset:544                // 000000004B68: D9C40220 280000DB
	ds_read_b64_tr_b8 v[42:43], v219 offset:800                // 000000004B70: D9C40320 2A0000DB
	s_waitcnt lgkmcnt(8)                                       // 000000004B78: BF8CC87F
	v_mfma_f32_32x32x64_f8f6f4 v[116:131], v[28:35], v[60:67], v[116:131]// 000000004B7C: D3AE0074 05D2791C
	ds_read_b64_tr_b8 v[44:45], v219 offset:8352               // 000000004B84: D9C420A0 2C0000DB
	ds_read_b64_tr_b8 v[46:47], v219 offset:8608               // 000000004B8C: D9C421A0 2E0000DB
	ds_read_b64_tr_b8 v[48:49], v219 offset:8864               // 000000004B94: D9C422A0 300000DB
	ds_read_b64_tr_b8 v[50:51], v219 offset:9120               // 000000004B9C: D9C423A0 320000DB
	s_waitcnt lgkmcnt(8)                                       // 000000004BA4: BF8CC87F
	v_mfma_f32_32x32x64_f8f6f4 v[132:147], v[36:43], v[52:59], v[132:147]// 000000004BA8: D3AE0084 06126924
	ds_read_b64_tr_b8 v[20:21], v219 offset:64                 // 000000004BB0: D9C40040 140000DB
	ds_read_b64_tr_b8 v[22:23], v219 offset:320                // 000000004BB8: D9C40140 160000DB
	ds_read_b64_tr_b8 v[24:25], v219 offset:576                // 000000004BC0: D9C40240 180000DB
	ds_read_b64_tr_b8 v[26:27], v219 offset:832                // 000000004BC8: D9C40340 1A0000DB
	s_waitcnt lgkmcnt(8)                                       // 000000004BD0: BF8CC87F
	v_mfma_f32_32x32x64_f8f6f4 v[132:147], v[44:51], v[60:67], v[132:147]// 000000004BD4: D3AE0084 0612792C
	ds_read_b64_tr_b8 v[28:29], v219 offset:8384               // 000000004BDC: D9C420C0 1C0000DB
	ds_read_b64_tr_b8 v[30:31], v219 offset:8640               // 000000004BE4: D9C421C0 1E0000DB
	ds_read_b64_tr_b8 v[32:33], v219 offset:8896               // 000000004BEC: D9C422C0 200000DB
	ds_read_b64_tr_b8 v[34:35], v219 offset:9152               // 000000004BF4: D9C423C0 220000DB
	s_waitcnt lgkmcnt(8)                                       // 000000004BFC: BF8CC87F
	v_mfma_f32_32x32x64_f8f6f4 v[148:163], v[20:27], v[52:59], v[148:163]// 000000004C00: D3AE0094 06526914
	ds_read_b64_tr_b8 v[36:37], v219 offset:96                 // 000000004C08: D9C40060 240000DB
	ds_read_b64_tr_b8 v[38:39], v219 offset:352                // 000000004C10: D9C40160 260000DB
	ds_read_b64_tr_b8 v[40:41], v219 offset:608                // 000000004C18: D9C40260 280000DB
	ds_read_b64_tr_b8 v[42:43], v219 offset:864                // 000000004C20: D9C40360 2A0000DB
	s_waitcnt lgkmcnt(8)                                       // 000000004C28: BF8CC87F
	v_mfma_f32_32x32x64_f8f6f4 v[148:163], v[28:35], v[60:67], v[148:163]// 000000004C2C: D3AE0094 0652791C
	ds_read_b64_tr_b8 v[44:45], v219 offset:8416               // 000000004C34: D9C420E0 2C0000DB
	ds_read_b64_tr_b8 v[46:47], v219 offset:8672               // 000000004C3C: D9C421E0 2E0000DB
	ds_read_b64_tr_b8 v[48:49], v219 offset:8928               // 000000004C44: D9C422E0 300000DB
	ds_read_b64_tr_b8 v[50:51], v219 offset:9184               // 000000004C4C: D9C423E0 320000DB
	s_waitcnt lgkmcnt(8)                                       // 000000004C54: BF8CC87F
	v_mfma_f32_32x32x64_f8f6f4 v[164:179], v[36:43], v[52:59], v[164:179]// 000000004C58: D3AE00A4 06926924
	ds_read_b128 v[20:23], v218 offset:16640                   // 000000004C60: D9FE4100 140000DA
	ds_read_b128 v[24:27], v218 offset:16672                   // 000000004C68: D9FE4120 180000DA
	s_waitcnt lgkmcnt(6)                                       // 000000004C70: BF8CC67F
	v_mfma_f32_32x32x64_f8f6f4 v[164:179], v[44:51], v[60:67], v[164:179]// 000000004C74: D3AE00A4 0692792C
	ds_read_b128 v[28:31], v218 offset:20800                   // 000000004C7C: D9FE5140 1C0000DA
	ds_read_b128 v[32:35], v218 offset:20832                   // 000000004C84: D9FE5160 200000DA
	s_addk_i32 s68, 0x80                                       // 000000004C8C: B7440080
	s_cmp_lt_i32 s68, s69                                      // 000000004C90: BF044544
	s_cbranch_scc0 label_3BB8                                  // 000000004C94: BF840AC8
	s_waitcnt lgkmcnt(2)                                       // 000000004C98: BF8CC27F
	v_mfma_f32_32x32x64_f8f6f4 v[52:67], v[20:27], v[4:11], 0  // 000000004C9C: D3AE0034 02020914
	v_mul_i32_i24_dpp v184, v180, v222 quad_perm:[0,0,0,0] row_mask:0xf bank_mask:0xf// 000000004CA4: 0D71BCFA FF0000B4
	v_mul_i32_i24_dpp v185, v180, v222 quad_perm:[1,1,1,1] row_mask:0xf bank_mask:0xf// 000000004CAC: 0D73BCFA FF0055B4
	v_add_u32_e32 v211, v210, v184                             // 000000004CB4: 69A771D2
	v_add_u32_e32 v212, v210, v185                             // 000000004CB8: 69A973D2
	ds_read_b128 v[36:39], v218 offset:17152                   // 000000004CBC: D9FE4300 240000DA
	ds_read_b128 v[40:43], v218 offset:17184                   // 000000004CC4: D9FE4320 280000DA
	s_waitcnt lgkmcnt(2)                                       // 000000004CCC: BF8CC27F
	v_mfma_f32_32x32x64_f8f6f4 v[52:67], v[28:35], v[12:19], v[52:67]// 000000004CD0: D3AE0034 04D2191C
	s_add_u32 m0, s71, 0                                       // 000000004CD8: 807C8047
	buffer_load_dwordx4 v211, s[12:15], 0 offen lds            // 000000004CDC: E05D1000 800300D3
	ds_read_b128 v[44:47], v218 offset:21312                   // 000000004CE4: D9FE5340 2C0000DA
	ds_read_b128 v[48:51], v218 offset:21344                   // 000000004CEC: D9FE5360 300000DA
	s_waitcnt lgkmcnt(2)                                       // 000000004CF4: BF8CC27F
	v_mfma_f32_32x32x64_f8f6f4 v[68:83], v[36:43], v[4:11], 0  // 000000004CF8: D3AE0044 02020924
	s_add_u32 m0, s71, 0x410                                   // 000000004D00: 807CFF47 00000410
	buffer_load_dwordx4 v212, s[12:15], 0 offen lds            // 000000004D08: E05D1000 800300D4
	ds_read_b128 v[20:23], v218 offset:24960                   // 000000004D10: D9FE6180 140000DA
	ds_read_b128 v[24:27], v218 offset:24992                   // 000000004D18: D9FE61A0 180000DA
	s_waitcnt lgkmcnt(2)                                       // 000000004D20: BF8CC27F
	v_mfma_f32_32x32x64_f8f6f4 v[68:83], v[44:51], v[12:19], v[68:83]// 000000004D24: D3AE0044 0512192C
	s_add_u32 m0, s71, 0x1000                                  // 000000004D2C: 807CFF47 00001000
	buffer_load_dwordx4 v211, s[12:15], 0 offen offset:64 lds  // 000000004D34: E05D1040 800300D3
	ds_read_b128 v[28:31], v218 offset:29120                   // 000000004D3C: D9FE71C0 1C0000DA
	ds_read_b128 v[32:35], v218 offset:29152                   // 000000004D44: D9FE71E0 200000DA
	s_waitcnt lgkmcnt(2)                                       // 000000004D4C: BF8CC27F
	v_mfma_f32_32x32x64_f8f6f4 v[84:99], v[20:27], v[4:11], 0  // 000000004D50: D3AE0054 02020914
	s_add_u32 m0, s71, 0x1410                                  // 000000004D58: 807CFF47 00001410
	buffer_load_dwordx4 v212, s[12:15], 0 offen offset:64 lds  // 000000004D60: E05D1040 800300D4
	ds_read_b128 v[36:39], v218 offset:25472                   // 000000004D68: D9FE6380 240000DA
	ds_read_b128 v[40:43], v218 offset:25504                   // 000000004D70: D9FE63A0 280000DA
	s_waitcnt lgkmcnt(2)                                       // 000000004D78: BF8CC27F
	v_mfma_f32_32x32x64_f8f6f4 v[84:99], v[28:35], v[12:19], v[84:99]// 000000004D7C: D3AE0054 0552191C
	ds_read_b128 v[44:47], v218 offset:29632                   // 000000004D84: D9FE73C0 2C0000DA
	ds_read_b128 v[48:51], v218 offset:29664                   // 000000004D8C: D9FE73E0 300000DA
	s_waitcnt lgkmcnt(2)                                       // 000000004D94: BF8CC27F
	v_mfma_f32_32x32x64_f8f6f4 v[100:115], v[36:43], v[4:11], 0// 000000004D98: D3AE0064 02020924
	s_barrier                                                  // 000000004DA0: BF8A0000
	ds_read_b64_tr_b8 v[20:21], v219 offset:16640              // 000000004DA4: D9C44100 140000DB
	ds_read_b64_tr_b8 v[22:23], v219 offset:16896              // 000000004DAC: D9C44200 160000DB
	ds_read_b64_tr_b8 v[24:25], v219 offset:17152              // 000000004DB4: D9C44300 180000DB
	ds_read_b64_tr_b8 v[26:27], v219 offset:17408              // 000000004DBC: D9C44400 1A0000DB
	s_waitcnt lgkmcnt(4)                                       // 000000004DC4: BF8CC47F
	v_mfma_f32_32x32x64_f8f6f4 v[100:115], v[44:51], v[12:19], v[100:115]// 000000004DC8: D3AE0064 0592192C
	ds_read_b64_tr_b8 v[28:29], v219 offset:24960              // 000000004DD0: D9C46180 1C0000DB
	ds_read_b64_tr_b8 v[30:31], v219 offset:25216              // 000000004DD8: D9C46280 1E0000DB
	ds_read_b64_tr_b8 v[32:33], v219 offset:25472              // 000000004DE0: D9C46380 200000DB
	ds_read_b64_tr_b8 v[34:35], v219 offset:25728              // 000000004DE8: D9C46480 220000DB
	s_nop 5                                                    // 000000004DF0: BF800005
	s_barrier                                                  // 000000004DF4: BF8A0000
	s_setprio 0                                                // 000000004DF8: BF8F0000
	s_barrier                                                  // 000000004DFC: BF8A0000
	v_mov_b32_e32 v193, v192                                   // 000000004E00: 7F8203C0
	v_max3_f32 v193, v52, v53, v193                            // 000000004E04: D1D300C1 07066B34
	v_max3_f32 v193, v54, v55, v193                            // 000000004E0C: D1D300C1 07066F36
	v_max3_f32 v193, v56, v57, v193                            // 000000004E14: D1D300C1 07067338
	v_max3_f32 v193, v58, v59, v193                            // 000000004E1C: D1D300C1 0706773A
	v_max3_f32 v193, v60, v61, v193                            // 000000004E24: D1D300C1 07067B3C
	v_max3_f32 v193, v62, v63, v193                            // 000000004E2C: D1D300C1 07067F3E
	v_max3_f32 v193, v64, v65, v193                            // 000000004E34: D1D300C1 07068340
	v_max3_f32 v193, v66, v67, v193                            // 000000004E3C: D1D300C1 07068742
	v_max3_f32 v193, v68, v69, v193                            // 000000004E44: D1D300C1 07068B44
	v_max3_f32 v193, v70, v71, v193                            // 000000004E4C: D1D300C1 07068F46
	v_max3_f32 v193, v72, v73, v193                            // 000000004E54: D1D300C1 07069348
	v_max3_f32 v193, v74, v75, v193                            // 000000004E5C: D1D300C1 0706974A
	v_max3_f32 v193, v76, v77, v193                            // 000000004E64: D1D300C1 07069B4C
	v_max3_f32 v193, v78, v79, v193                            // 000000004E6C: D1D300C1 07069F4E
	v_max3_f32 v193, v80, v81, v193                            // 000000004E74: D1D300C1 0706A350
	v_max3_f32 v193, v82, v83, v193                            // 000000004E7C: D1D300C1 0706A752
	v_max3_f32 v193, v84, v85, v193                            // 000000004E84: D1D300C1 0706AB54
	v_max3_f32 v193, v86, v87, v193                            // 000000004E8C: D1D300C1 0706AF56
	v_max3_f32 v193, v88, v89, v193                            // 000000004E94: D1D300C1 0706B358
	v_max3_f32 v193, v90, v91, v193                            // 000000004E9C: D1D300C1 0706B75A
	v_max3_f32 v193, v92, v93, v193                            // 000000004EA4: D1D300C1 0706BB5C
	v_max3_f32 v193, v94, v95, v193                            // 000000004EAC: D1D300C1 0706BF5E
	v_max3_f32 v193, v96, v97, v193                            // 000000004EB4: D1D300C1 0706C360
	v_max3_f32 v193, v98, v99, v193                            // 000000004EBC: D1D300C1 0706C762
	v_max3_f32 v193, v100, v101, v193                          // 000000004EC4: D1D300C1 0706CB64
	v_max3_f32 v193, v102, v103, v193                          // 000000004ECC: D1D300C1 0706CF66
	v_max3_f32 v193, v104, v105, v193                          // 000000004ED4: D1D300C1 0706D368
	v_max3_f32 v193, v106, v107, v193                          // 000000004EDC: D1D300C1 0706D76A
	v_max3_f32 v193, v108, v109, v193                          // 000000004EE4: D1D300C1 0706DB6C
	v_max3_f32 v193, v110, v111, v193                          // 000000004EEC: D1D300C1 0706DF6E
	v_max3_f32 v193, v112, v113, v193                          // 000000004EF4: D1D300C1 0706E370
	v_max3_f32 v193, v114, v115, v193                          // 000000004EFC: D1D300C1 0706E772
	v_mov_b32_e32 v184, v193                                   // 000000004F04: 7F7003C1
	s_nop 1                                                    // 000000004F08: BF800001
	s_nop 0                                                    // 000000004F0C: BF800000
	v_permlane32_swap_b32_e32 v184, v193                       // 000000004F10: 7F70B5C1
	v_max_f32_e32 v193, v193, v184                             // 000000004F14: 178371C1
	v_cmp_eq_u32_e64 s[66:67], v197, v193                      // 000000004F18: D0CA0042 000383C5
	s_nop 0                                                    // 000000004F20: BF800000
	v_cndmask_b32_e64 v193, v193, 0, s[66:67]                  // 000000004F24: D10000C1 010901C1
	v_mul_f32_e64 v184, -s26, v193                             // 000000004F2C: D10500B8 2003821A
	v_mov_b32_e32 v185, v184                                   // 000000004F34: 7F7203B8
	v_pk_fma_f32 v[52:53], v[52:53], s[26:27], v[184:185]      // 000000004F38: D3B04034 1EE03534
	v_pk_fma_f32 v[54:55], v[54:55], s[26:27], v[184:185]      // 000000004F40: D3B04036 1EE03536
	v_pk_fma_f32 v[56:57], v[56:57], s[26:27], v[184:185]      // 000000004F48: D3B04038 1EE03538
	v_pk_fma_f32 v[58:59], v[58:59], s[26:27], v[184:185]      // 000000004F50: D3B0403A 1EE0353A
	v_pk_fma_f32 v[60:61], v[60:61], s[26:27], v[184:185]      // 000000004F58: D3B0403C 1EE0353C
	v_pk_fma_f32 v[62:63], v[62:63], s[26:27], v[184:185]      // 000000004F60: D3B0403E 1EE0353E
	v_pk_fma_f32 v[64:65], v[64:65], s[26:27], v[184:185]      // 000000004F68: D3B04040 1EE03540
	v_pk_fma_f32 v[66:67], v[66:67], s[26:27], v[184:185]      // 000000004F70: D3B04042 1EE03542
	v_pk_fma_f32 v[68:69], v[68:69], s[26:27], v[184:185]      // 000000004F78: D3B04044 1EE03544
	v_pk_fma_f32 v[70:71], v[70:71], s[26:27], v[184:185]      // 000000004F80: D3B04046 1EE03546
	v_pk_fma_f32 v[72:73], v[72:73], s[26:27], v[184:185]      // 000000004F88: D3B04048 1EE03548
	v_pk_fma_f32 v[74:75], v[74:75], s[26:27], v[184:185]      // 000000004F90: D3B0404A 1EE0354A
	v_pk_fma_f32 v[76:77], v[76:77], s[26:27], v[184:185]      // 000000004F98: D3B0404C 1EE0354C
	v_pk_fma_f32 v[78:79], v[78:79], s[26:27], v[184:185]      // 000000004FA0: D3B0404E 1EE0354E
	v_pk_fma_f32 v[80:81], v[80:81], s[26:27], v[184:185]      // 000000004FA8: D3B04050 1EE03550
	v_pk_fma_f32 v[82:83], v[82:83], s[26:27], v[184:185]      // 000000004FB0: D3B04052 1EE03552
	v_pk_fma_f32 v[84:85], v[84:85], s[26:27], v[184:185]      // 000000004FB8: D3B04054 1EE03554
	v_pk_fma_f32 v[86:87], v[86:87], s[26:27], v[184:185]      // 000000004FC0: D3B04056 1EE03556
	v_pk_fma_f32 v[88:89], v[88:89], s[26:27], v[184:185]      // 000000004FC8: D3B04058 1EE03558
	v_pk_fma_f32 v[90:91], v[90:91], s[26:27], v[184:185]      // 000000004FD0: D3B0405A 1EE0355A
	v_pk_fma_f32 v[92:93], v[92:93], s[26:27], v[184:185]      // 000000004FD8: D3B0405C 1EE0355C
	v_pk_fma_f32 v[94:95], v[94:95], s[26:27], v[184:185]      // 000000004FE0: D3B0405E 1EE0355E
	v_pk_fma_f32 v[96:97], v[96:97], s[26:27], v[184:185]      // 000000004FE8: D3B04060 1EE03560
	v_pk_fma_f32 v[98:99], v[98:99], s[26:27], v[184:185]      // 000000004FF0: D3B04062 1EE03562
	v_pk_fma_f32 v[100:101], v[100:101], s[26:27], v[184:185]  // 000000004FF8: D3B04064 1EE03564
	v_pk_fma_f32 v[102:103], v[102:103], s[26:27], v[184:185]  // 000000005000: D3B04066 1EE03566
	v_pk_fma_f32 v[104:105], v[104:105], s[26:27], v[184:185]  // 000000005008: D3B04068 1EE03568
	v_pk_fma_f32 v[106:107], v[106:107], s[26:27], v[184:185]  // 000000005010: D3B0406A 1EE0356A
	v_pk_fma_f32 v[108:109], v[108:109], s[26:27], v[184:185]  // 000000005018: D3B0406C 1EE0356C
	v_pk_fma_f32 v[110:111], v[110:111], s[26:27], v[184:185]  // 000000005020: D3B0406E 1EE0356E
	v_pk_fma_f32 v[112:113], v[112:113], s[26:27], v[184:185]  // 000000005028: D3B04070 1EE03570
	v_pk_fma_f32 v[114:115], v[114:115], s[26:27], v[184:185]  // 000000005030: D3B04072 1EE03572
	s_barrier                                                  // 000000005038: BF8A0000
	v_exp_f32_e32 v52, v52                                     // 00000000503C: 7E684134
	v_exp_f32_e32 v53, v53                                     // 000000005040: 7E6A4135
	v_exp_f32_e32 v54, v54                                     // 000000005044: 7E6C4136
	v_exp_f32_e32 v55, v55                                     // 000000005048: 7E6E4137
	v_exp_f32_e32 v56, v56                                     // 00000000504C: 7E704138
	v_exp_f32_e32 v57, v57                                     // 000000005050: 7E724139
	v_exp_f32_e32 v58, v58                                     // 000000005054: 7E74413A
	v_exp_f32_e32 v59, v59                                     // 000000005058: 7E76413B
	v_exp_f32_e32 v60, v60                                     // 00000000505C: 7E78413C
	v_exp_f32_e32 v61, v61                                     // 000000005060: 7E7A413D
	v_exp_f32_e32 v62, v62                                     // 000000005064: 7E7C413E
	v_exp_f32_e32 v63, v63                                     // 000000005068: 7E7E413F
	v_exp_f32_e32 v64, v64                                     // 00000000506C: 7E804140
	v_exp_f32_e32 v65, v65                                     // 000000005070: 7E824141
	v_exp_f32_e32 v66, v66                                     // 000000005074: 7E844142
	v_exp_f32_e32 v67, v67                                     // 000000005078: 7E864143
	v_exp_f32_e32 v68, v68                                     // 00000000507C: 7E884144
	v_exp_f32_e32 v69, v69                                     // 000000005080: 7E8A4145
	v_exp_f32_e32 v70, v70                                     // 000000005084: 7E8C4146
	v_exp_f32_e32 v71, v71                                     // 000000005088: 7E8E4147
	v_exp_f32_e32 v72, v72                                     // 00000000508C: 7E904148
	v_exp_f32_e32 v73, v73                                     // 000000005090: 7E924149
	v_exp_f32_e32 v74, v74                                     // 000000005094: 7E94414A
	v_exp_f32_e32 v75, v75                                     // 000000005098: 7E96414B
	v_exp_f32_e32 v76, v76                                     // 00000000509C: 7E98414C
	v_exp_f32_e32 v77, v77                                     // 0000000050A0: 7E9A414D
	v_exp_f32_e32 v78, v78                                     // 0000000050A4: 7E9C414E
	v_exp_f32_e32 v79, v79                                     // 0000000050A8: 7E9E414F
	v_exp_f32_e32 v80, v80                                     // 0000000050AC: 7EA04150
	v_exp_f32_e32 v81, v81                                     // 0000000050B0: 7EA24151
	v_exp_f32_e32 v82, v82                                     // 0000000050B4: 7EA44152
	v_exp_f32_e32 v83, v83                                     // 0000000050B8: 7EA64153
	v_exp_f32_e32 v84, v84                                     // 0000000050BC: 7EA84154
	v_exp_f32_e32 v85, v85                                     // 0000000050C0: 7EAA4155
	v_exp_f32_e32 v86, v86                                     // 0000000050C4: 7EAC4156
	v_exp_f32_e32 v87, v87                                     // 0000000050C8: 7EAE4157
	v_exp_f32_e32 v88, v88                                     // 0000000050CC: 7EB04158
	v_exp_f32_e32 v89, v89                                     // 0000000050D0: 7EB24159
	v_exp_f32_e32 v90, v90                                     // 0000000050D4: 7EB4415A
	v_exp_f32_e32 v91, v91                                     // 0000000050D8: 7EB6415B
	v_exp_f32_e32 v92, v92                                     // 0000000050DC: 7EB8415C
	v_exp_f32_e32 v93, v93                                     // 0000000050E0: 7EBA415D
	v_exp_f32_e32 v94, v94                                     // 0000000050E4: 7EBC415E
	v_exp_f32_e32 v95, v95                                     // 0000000050E8: 7EBE415F
	v_exp_f32_e32 v96, v96                                     // 0000000050EC: 7EC04160
	v_exp_f32_e32 v97, v97                                     // 0000000050F0: 7EC24161
	v_exp_f32_e32 v98, v98                                     // 0000000050F4: 7EC44162
	v_exp_f32_e32 v99, v99                                     // 0000000050F8: 7EC64163
	v_exp_f32_e32 v100, v100                                   // 0000000050FC: 7EC84164
	v_exp_f32_e32 v101, v101                                   // 000000005100: 7ECA4165
	v_exp_f32_e32 v102, v102                                   // 000000005104: 7ECC4166
	v_exp_f32_e32 v103, v103                                   // 000000005108: 7ECE4167
	v_exp_f32_e32 v104, v104                                   // 00000000510C: 7ED04168
	v_exp_f32_e32 v105, v105                                   // 000000005110: 7ED24169
	v_exp_f32_e32 v106, v106                                   // 000000005114: 7ED4416A
	v_exp_f32_e32 v107, v107                                   // 000000005118: 7ED6416B
	v_exp_f32_e32 v108, v108                                   // 00000000511C: 7ED8416C
	v_exp_f32_e32 v109, v109                                   // 000000005120: 7EDA416D
	v_exp_f32_e32 v110, v110                                   // 000000005124: 7EDC416E
	v_exp_f32_e32 v111, v111                                   // 000000005128: 7EDE416F
	v_exp_f32_e32 v112, v112                                   // 00000000512C: 7EE04170
	v_exp_f32_e32 v113, v113                                   // 000000005130: 7EE24171
	v_exp_f32_e32 v114, v114                                   // 000000005134: 7EE44172
	v_exp_f32_e32 v115, v115                                   // 000000005138: 7EE64173
	v_sub_f32_e32 v188, v192, v193                             // 00000000513C: 057983C0
	v_cmp_eq_u32_e64 s[66:67], v197, v192                      // 000000005140: D0CA0042 000381C5
	s_nop 0                                                    // 000000005148: BF800000
	v_cndmask_b32_e64 v188, v188, 0, s[66:67]                  // 00000000514C: D10000BC 010901BC
	v_mov_b32_e32 v192, v193                                   // 000000005154: 7F8003C1
	v_mul_f32_e32 v188, s26, v188                              // 000000005158: 0B79781A
	v_exp_f32_e32 v188, v188                                   // 00000000515C: 7F7841BC
	s_nop 0                                                    // 000000005160: BF800000
	v_mul_f32_e32 v190, v188, v190                             // 000000005164: 0B7D7DBC
	v_add_f32_e32 v190, v52, v190                              // 000000005168: 037D7D34
	v_add_f32_e32 v190, v53, v190                              // 00000000516C: 037D7D35
	v_add_f32_e32 v190, v54, v190                              // 000000005170: 037D7D36
	v_add_f32_e32 v190, v55, v190                              // 000000005174: 037D7D37
	v_add_f32_e32 v190, v56, v190                              // 000000005178: 037D7D38
	v_add_f32_e32 v190, v57, v190                              // 00000000517C: 037D7D39
	v_add_f32_e32 v190, v58, v190                              // 000000005180: 037D7D3A
	v_add_f32_e32 v190, v59, v190                              // 000000005184: 037D7D3B
	v_add_f32_e32 v190, v60, v190                              // 000000005188: 037D7D3C
	v_add_f32_e32 v190, v61, v190                              // 00000000518C: 037D7D3D
	v_add_f32_e32 v190, v62, v190                              // 000000005190: 037D7D3E
	v_add_f32_e32 v190, v63, v190                              // 000000005194: 037D7D3F
	v_add_f32_e32 v190, v64, v190                              // 000000005198: 037D7D40
	v_add_f32_e32 v190, v65, v190                              // 00000000519C: 037D7D41
	v_add_f32_e32 v190, v66, v190                              // 0000000051A0: 037D7D42
	v_add_f32_e32 v190, v67, v190                              // 0000000051A4: 037D7D43
	v_add_f32_e32 v190, v68, v190                              // 0000000051A8: 037D7D44
	v_add_f32_e32 v190, v69, v190                              // 0000000051AC: 037D7D45
	v_add_f32_e32 v190, v70, v190                              // 0000000051B0: 037D7D46
	v_add_f32_e32 v190, v71, v190                              // 0000000051B4: 037D7D47
	v_add_f32_e32 v190, v72, v190                              // 0000000051B8: 037D7D48
	v_add_f32_e32 v190, v73, v190                              // 0000000051BC: 037D7D49
	v_add_f32_e32 v190, v74, v190                              // 0000000051C0: 037D7D4A
	v_add_f32_e32 v190, v75, v190                              // 0000000051C4: 037D7D4B
	v_add_f32_e32 v190, v76, v190                              // 0000000051C8: 037D7D4C
	v_add_f32_e32 v190, v77, v190                              // 0000000051CC: 037D7D4D
	v_add_f32_e32 v190, v78, v190                              // 0000000051D0: 037D7D4E
	v_add_f32_e32 v190, v79, v190                              // 0000000051D4: 037D7D4F
	v_add_f32_e32 v190, v80, v190                              // 0000000051D8: 037D7D50
	v_add_f32_e32 v190, v81, v190                              // 0000000051DC: 037D7D51
	v_add_f32_e32 v190, v82, v190                              // 0000000051E0: 037D7D52
	v_add_f32_e32 v190, v83, v190                              // 0000000051E4: 037D7D53
	v_add_f32_e32 v190, v84, v190                              // 0000000051E8: 037D7D54
	v_add_f32_e32 v190, v85, v190                              // 0000000051EC: 037D7D55
	v_add_f32_e32 v190, v86, v190                              // 0000000051F0: 037D7D56
	v_add_f32_e32 v190, v87, v190                              // 0000000051F4: 037D7D57
	v_add_f32_e32 v190, v88, v190                              // 0000000051F8: 037D7D58
	v_add_f32_e32 v190, v89, v190                              // 0000000051FC: 037D7D59
	v_add_f32_e32 v190, v90, v190                              // 000000005200: 037D7D5A
	v_add_f32_e32 v190, v91, v190                              // 000000005204: 037D7D5B
	v_add_f32_e32 v190, v92, v190                              // 000000005208: 037D7D5C
	v_add_f32_e32 v190, v93, v190                              // 00000000520C: 037D7D5D
	v_add_f32_e32 v190, v94, v190                              // 000000005210: 037D7D5E
	v_add_f32_e32 v190, v95, v190                              // 000000005214: 037D7D5F
	v_add_f32_e32 v190, v96, v190                              // 000000005218: 037D7D60
	v_add_f32_e32 v190, v97, v190                              // 00000000521C: 037D7D61
	v_add_f32_e32 v190, v98, v190                              // 000000005220: 037D7D62
	v_add_f32_e32 v190, v99, v190                              // 000000005224: 037D7D63
	v_add_f32_e32 v190, v100, v190                             // 000000005228: 037D7D64
	v_add_f32_e32 v190, v101, v190                             // 00000000522C: 037D7D65
	v_add_f32_e32 v190, v102, v190                             // 000000005230: 037D7D66
	v_add_f32_e32 v190, v103, v190                             // 000000005234: 037D7D67
	v_add_f32_e32 v190, v104, v190                             // 000000005238: 037D7D68
	v_add_f32_e32 v190, v105, v190                             // 00000000523C: 037D7D69
	v_add_f32_e32 v190, v106, v190                             // 000000005240: 037D7D6A
	v_add_f32_e32 v190, v107, v190                             // 000000005244: 037D7D6B
	v_add_f32_e32 v190, v108, v190                             // 000000005248: 037D7D6C
	v_add_f32_e32 v190, v109, v190                             // 00000000524C: 037D7D6D
	v_add_f32_e32 v190, v110, v190                             // 000000005250: 037D7D6E
	v_add_f32_e32 v190, v111, v190                             // 000000005254: 037D7D6F
	v_add_f32_e32 v190, v112, v190                             // 000000005258: 037D7D70
	v_add_f32_e32 v190, v113, v190                             // 00000000525C: 037D7D71
	v_add_f32_e32 v190, v114, v190                             // 000000005260: 037D7D72
	v_add_f32_e32 v190, v115, v190                             // 000000005264: 037D7D73
	v_mul_f32_e32 v116, v188, v116                             // 000000005268: 0AE8E9BC
	v_mul_f32_e32 v117, v188, v117                             // 00000000526C: 0AEAEBBC
	v_mul_f32_e32 v118, v188, v118                             // 000000005270: 0AECEDBC
	v_mul_f32_e32 v119, v188, v119                             // 000000005274: 0AEEEFBC
	v_mul_f32_e32 v120, v188, v120                             // 000000005278: 0AF0F1BC
	v_mul_f32_e32 v121, v188, v121                             // 00000000527C: 0AF2F3BC
	v_mul_f32_e32 v122, v188, v122                             // 000000005280: 0AF4F5BC
	v_mul_f32_e32 v123, v188, v123                             // 000000005284: 0AF6F7BC
	v_mul_f32_e32 v124, v188, v124                             // 000000005288: 0AF8F9BC
	v_mul_f32_e32 v125, v188, v125                             // 00000000528C: 0AFAFBBC
	v_mul_f32_e32 v126, v188, v126                             // 000000005290: 0AFCFDBC
	v_mul_f32_e32 v127, v188, v127                             // 000000005294: 0AFEFFBC
	v_mul_f32_e32 v128, v188, v128                             // 000000005298: 0B0101BC
	v_mul_f32_e32 v129, v188, v129                             // 00000000529C: 0B0303BC
	v_mul_f32_e32 v130, v188, v130                             // 0000000052A0: 0B0505BC
	v_mul_f32_e32 v131, v188, v131                             // 0000000052A4: 0B0707BC
	v_mul_f32_e32 v132, v188, v132                             // 0000000052A8: 0B0909BC
	v_mul_f32_e32 v133, v188, v133                             // 0000000052AC: 0B0B0BBC
	v_mul_f32_e32 v134, v188, v134                             // 0000000052B0: 0B0D0DBC
	v_mul_f32_e32 v135, v188, v135                             // 0000000052B4: 0B0F0FBC
	v_mul_f32_e32 v136, v188, v136                             // 0000000052B8: 0B1111BC
	v_mul_f32_e32 v137, v188, v137                             // 0000000052BC: 0B1313BC
	v_mul_f32_e32 v138, v188, v138                             // 0000000052C0: 0B1515BC
	v_mul_f32_e32 v139, v188, v139                             // 0000000052C4: 0B1717BC
	v_mul_f32_e32 v140, v188, v140                             // 0000000052C8: 0B1919BC
	v_mul_f32_e32 v141, v188, v141                             // 0000000052CC: 0B1B1BBC
	v_mul_f32_e32 v142, v188, v142                             // 0000000052D0: 0B1D1DBC
	v_mul_f32_e32 v143, v188, v143                             // 0000000052D4: 0B1F1FBC
	v_mul_f32_e32 v144, v188, v144                             // 0000000052D8: 0B2121BC
	v_mul_f32_e32 v145, v188, v145                             // 0000000052DC: 0B2323BC
	v_mul_f32_e32 v146, v188, v146                             // 0000000052E0: 0B2525BC
	v_mul_f32_e32 v147, v188, v147                             // 0000000052E4: 0B2727BC
	v_mul_f32_e32 v148, v188, v148                             // 0000000052E8: 0B2929BC
	v_mul_f32_e32 v149, v188, v149                             // 0000000052EC: 0B2B2BBC
	v_mul_f32_e32 v150, v188, v150                             // 0000000052F0: 0B2D2DBC
	v_mul_f32_e32 v151, v188, v151                             // 0000000052F4: 0B2F2FBC
	v_mul_f32_e32 v152, v188, v152                             // 0000000052F8: 0B3131BC
	v_mul_f32_e32 v153, v188, v153                             // 0000000052FC: 0B3333BC
	v_mul_f32_e32 v154, v188, v154                             // 000000005300: 0B3535BC
	v_mul_f32_e32 v155, v188, v155                             // 000000005304: 0B3737BC
	v_mul_f32_e32 v156, v188, v156                             // 000000005308: 0B3939BC
	v_mul_f32_e32 v157, v188, v157                             // 00000000530C: 0B3B3BBC
	v_mul_f32_e32 v158, v188, v158                             // 000000005310: 0B3D3DBC
	v_mul_f32_e32 v159, v188, v159                             // 000000005314: 0B3F3FBC
	v_mul_f32_e32 v160, v188, v160                             // 000000005318: 0B4141BC
	v_mul_f32_e32 v161, v188, v161                             // 00000000531C: 0B4343BC
	v_mul_f32_e32 v162, v188, v162                             // 000000005320: 0B4545BC
	v_mul_f32_e32 v163, v188, v163                             // 000000005324: 0B4747BC
	v_mul_f32_e32 v164, v188, v164                             // 000000005328: 0B4949BC
	v_mul_f32_e32 v165, v188, v165                             // 00000000532C: 0B4B4BBC
	v_mul_f32_e32 v166, v188, v166                             // 000000005330: 0B4D4DBC
	v_mul_f32_e32 v167, v188, v167                             // 000000005334: 0B4F4FBC
	v_mul_f32_e32 v168, v188, v168                             // 000000005338: 0B5151BC
	v_mul_f32_e32 v169, v188, v169                             // 00000000533C: 0B5353BC
	v_mul_f32_e32 v170, v188, v170                             // 000000005340: 0B5555BC
	v_mul_f32_e32 v171, v188, v171                             // 000000005344: 0B5757BC
	v_mul_f32_e32 v172, v188, v172                             // 000000005348: 0B5959BC
	v_mul_f32_e32 v173, v188, v173                             // 00000000534C: 0B5B5BBC
	v_mul_f32_e32 v174, v188, v174                             // 000000005350: 0B5D5DBC
	v_mul_f32_e32 v175, v188, v175                             // 000000005354: 0B5F5FBC
	v_mul_f32_e32 v176, v188, v176                             // 000000005358: 0B6161BC
	v_mul_f32_e32 v177, v188, v177                             // 00000000535C: 0B6363BC
	v_mul_f32_e32 v178, v188, v178                             // 000000005360: 0B6565BC
	v_mul_f32_e32 v179, v188, v179                             // 000000005364: 0B6767BC
	v_mov_b32_e32 v189, v188                                   // 000000005368: 7F7A03BC
	s_barrier                                                  // 00000000536C: BF8A0000
	v_cvt_pk_fp8_f32 v52, v52, v53                             // 000000005370: D2A20034 00026B34
	v_cvt_pk_fp8_f32 v52, v54, v55 op_sel:[0,0,1]              // 000000005378: D2A24034 00026F36
	v_cvt_pk_fp8_f32 v53, v56, v57                             // 000000005380: D2A20035 00027338
	v_cvt_pk_fp8_f32 v53, v58, v59 op_sel:[0,0,1]              // 000000005388: D2A24035 0002773A
	v_cvt_pk_fp8_f32 v54, v60, v61                             // 000000005390: D2A20036 00027B3C
	v_cvt_pk_fp8_f32 v54, v62, v63 op_sel:[0,0,1]              // 000000005398: D2A24036 00027F3E
	v_cvt_pk_fp8_f32 v55, v64, v65                             // 0000000053A0: D2A20037 00028340
	v_cvt_pk_fp8_f32 v55, v66, v67 op_sel:[0,0,1]              // 0000000053A8: D2A24037 00028742
	v_cvt_pk_fp8_f32 v56, v68, v69                             // 0000000053B0: D2A20038 00028B44
	v_cvt_pk_fp8_f32 v56, v70, v71 op_sel:[0,0,1]              // 0000000053B8: D2A24038 00028F46
	v_cvt_pk_fp8_f32 v57, v72, v73                             // 0000000053C0: D2A20039 00029348
	v_cvt_pk_fp8_f32 v57, v74, v75 op_sel:[0,0,1]              // 0000000053C8: D2A24039 0002974A
	v_cvt_pk_fp8_f32 v58, v76, v77                             // 0000000053D0: D2A2003A 00029B4C
	v_cvt_pk_fp8_f32 v58, v78, v79 op_sel:[0,0,1]              // 0000000053D8: D2A2403A 00029F4E
	v_cvt_pk_fp8_f32 v59, v80, v81                             // 0000000053E0: D2A2003B 0002A350
	v_cvt_pk_fp8_f32 v59, v82, v83 op_sel:[0,0,1]              // 0000000053E8: D2A2403B 0002A752
	v_cvt_pk_fp8_f32 v60, v84, v85                             // 0000000053F0: D2A2003C 0002AB54
	v_cvt_pk_fp8_f32 v60, v86, v87 op_sel:[0,0,1]              // 0000000053F8: D2A2403C 0002AF56
	v_cvt_pk_fp8_f32 v61, v88, v89                             // 000000005400: D2A2003D 0002B358
	v_cvt_pk_fp8_f32 v61, v90, v91 op_sel:[0,0,1]              // 000000005408: D2A2403D 0002B75A
	v_cvt_pk_fp8_f32 v62, v92, v93                             // 000000005410: D2A2003E 0002BB5C
	v_cvt_pk_fp8_f32 v62, v94, v95 op_sel:[0,0,1]              // 000000005418: D2A2403E 0002BF5E
	v_cvt_pk_fp8_f32 v63, v96, v97                             // 000000005420: D2A2003F 0002C360
	v_cvt_pk_fp8_f32 v63, v98, v99 op_sel:[0,0,1]              // 000000005428: D2A2403F 0002C762
	v_cvt_pk_fp8_f32 v64, v100, v101                           // 000000005430: D2A20040 0002CB64
	v_cvt_pk_fp8_f32 v64, v102, v103 op_sel:[0,0,1]            // 000000005438: D2A24040 0002CF66
	v_cvt_pk_fp8_f32 v65, v104, v105                           // 000000005440: D2A20041 0002D368
	v_cvt_pk_fp8_f32 v65, v106, v107 op_sel:[0,0,1]            // 000000005448: D2A24041 0002D76A
	v_cvt_pk_fp8_f32 v66, v108, v109                           // 000000005450: D2A20042 0002DB6C
	v_cvt_pk_fp8_f32 v66, v110, v111 op_sel:[0,0,1]            // 000000005458: D2A24042 0002DF6E
	v_cvt_pk_fp8_f32 v67, v112, v113                           // 000000005460: D2A20043 0002E370
	v_cvt_pk_fp8_f32 v67, v114, v115 op_sel:[0,0,1]            // 000000005468: D2A24043 0002E772
	s_barrier                                                  // 000000005470: BF8A0000
	s_waitcnt vmcnt(0)                                         // 000000005474: BF8C0F70
	s_waitcnt lgkmcnt(8)                                       // 000000005478: BF8CC87F
	s_setprio 1                                                // 00000000547C: BF8F0001
	s_barrier                                                  // 000000005480: BF8A0000
	v_mfma_f32_32x32x64_f8f6f4 v[116:131], v[20:27], v[52:59], v[116:131]// 000000005484: D3AE0074 05D26914
	ds_read_b64_tr_b8 v[36:37], v219 offset:16672              // 00000000548C: D9C44120 240000DB
	ds_read_b64_tr_b8 v[38:39], v219 offset:16928              // 000000005494: D9C44220 260000DB
	ds_read_b64_tr_b8 v[40:41], v219 offset:17184              // 00000000549C: D9C44320 280000DB
	ds_read_b64_tr_b8 v[42:43], v219 offset:17440              // 0000000054A4: D9C44420 2A0000DB
	s_waitcnt lgkmcnt(8)                                       // 0000000054AC: BF8CC87F
	v_mfma_f32_32x32x64_f8f6f4 v[116:131], v[28:35], v[60:67], v[116:131]// 0000000054B0: D3AE0074 05D2791C
	ds_read_b64_tr_b8 v[44:45], v219 offset:24992              // 0000000054B8: D9C461A0 2C0000DB
	ds_read_b64_tr_b8 v[46:47], v219 offset:25248              // 0000000054C0: D9C462A0 2E0000DB
	ds_read_b64_tr_b8 v[48:49], v219 offset:25504              // 0000000054C8: D9C463A0 300000DB
	ds_read_b64_tr_b8 v[50:51], v219 offset:25760              // 0000000054D0: D9C464A0 320000DB
	s_waitcnt lgkmcnt(8)                                       // 0000000054D8: BF8CC87F
	v_mfma_f32_32x32x64_f8f6f4 v[132:147], v[36:43], v[52:59], v[132:147]// 0000000054DC: D3AE0084 06126924
	ds_read_b64_tr_b8 v[20:21], v219 offset:16704              // 0000000054E4: D9C44140 140000DB
	ds_read_b64_tr_b8 v[22:23], v219 offset:16960              // 0000000054EC: D9C44240 160000DB
	ds_read_b64_tr_b8 v[24:25], v219 offset:17216              // 0000000054F4: D9C44340 180000DB
	ds_read_b64_tr_b8 v[26:27], v219 offset:17472              // 0000000054FC: D9C44440 1A0000DB
	s_waitcnt lgkmcnt(8)                                       // 000000005504: BF8CC87F
	v_mfma_f32_32x32x64_f8f6f4 v[132:147], v[44:51], v[60:67], v[132:147]// 000000005508: D3AE0084 0612792C
	ds_read_b64_tr_b8 v[28:29], v219 offset:25024              // 000000005510: D9C461C0 1C0000DB
	ds_read_b64_tr_b8 v[30:31], v219 offset:25280              // 000000005518: D9C462C0 1E0000DB
	ds_read_b64_tr_b8 v[32:33], v219 offset:25536              // 000000005520: D9C463C0 200000DB
	ds_read_b64_tr_b8 v[34:35], v219 offset:25792              // 000000005528: D9C464C0 220000DB
	s_waitcnt lgkmcnt(8)                                       // 000000005530: BF8CC87F
	v_mfma_f32_32x32x64_f8f6f4 v[148:163], v[20:27], v[52:59], v[148:163]// 000000005534: D3AE0094 06526914
	ds_read_b64_tr_b8 v[36:37], v219 offset:16736              // 00000000553C: D9C44160 240000DB
	ds_read_b64_tr_b8 v[38:39], v219 offset:16992              // 000000005544: D9C44260 260000DB
	ds_read_b64_tr_b8 v[40:41], v219 offset:17248              // 00000000554C: D9C44360 280000DB
	ds_read_b64_tr_b8 v[42:43], v219 offset:17504              // 000000005554: D9C44460 2A0000DB
	s_waitcnt lgkmcnt(8)                                       // 00000000555C: BF8CC87F
	v_mfma_f32_32x32x64_f8f6f4 v[148:163], v[28:35], v[60:67], v[148:163]// 000000005560: D3AE0094 0652791C
	ds_read_b64_tr_b8 v[44:45], v219 offset:25056              // 000000005568: D9C461E0 2C0000DB
	ds_read_b64_tr_b8 v[46:47], v219 offset:25312              // 000000005570: D9C462E0 2E0000DB
	ds_read_b64_tr_b8 v[48:49], v219 offset:25568              // 000000005578: D9C463E0 300000DB
	ds_read_b64_tr_b8 v[50:51], v219 offset:25824              // 000000005580: D9C464E0 320000DB
	s_waitcnt lgkmcnt(8)                                       // 000000005588: BF8CC87F
	v_mfma_f32_32x32x64_f8f6f4 v[164:179], v[36:43], v[52:59], v[164:179]// 00000000558C: D3AE00A4 06926924
	ds_read_b128 v[20:23], v218                                // 000000005594: D9FE0000 140000DA
	ds_read_b128 v[24:27], v218 offset:32                      // 00000000559C: D9FE0020 180000DA
	s_waitcnt lgkmcnt(6)                                       // 0000000055A4: BF8CC67F
	v_mfma_f32_32x32x64_f8f6f4 v[164:179], v[44:51], v[60:67], v[164:179]// 0000000055A8: D3AE00A4 0692792C
	ds_read_b128 v[28:31], v218 offset:4160                    // 0000000055B0: D9FE1040 1C0000DA
	ds_read_b128 v[32:35], v218 offset:4192                    // 0000000055B8: D9FE1060 200000DA
	s_addk_i32 s68, 0x80                                       // 0000000055C0: B7440080
	s_branch label_074C                                        // 0000000055C4: BF82FB61

00000000000055c8 <label_19C8>:
	s_setprio 0                                                // 0000000055C8: BF8F0000
	s_lshl_b32 s66, s42, 2                                     // 0000000055CC: 8E42822A
	v_add_u32_e32 v209, s66, v208                              // 0000000055D0: 69A3A042
	v_lshrrev_b32_e32 v181, 2, v209                            // 0000000055D4: 216BA282
	v_add_u32_e32 v184, 0x200, v209                            // 0000000055D8: 6971A2FF 00000200
	v_lshrrev_b32_e32 v182, 2, v184                            // 0000000055E0: 216D7082
	v_add_u32_e32 v209, 0x400, v209                            // 0000000055E4: 69A3A2FF 00000400
	v_mov_b32_e32 v203, v201                                   // 0000000055EC: 7F9603C9
	v_mov_b32_e32 v204, v202                                   // 0000000055F0: 7F9803CA
	s_add_u32 m0, s70, 0                                       // 0000000055F4: 807C8046
	buffer_load_dwordx4 v203, s[8:11], 0 offen lds             // 0000000055F8: E05D1000 800200CB
	s_add_u32 m0, s70, 0x410                                   // 000000005600: 807CFF46 00000410
	buffer_load_dwordx4 v204, s[8:11], 0 offen lds             // 000000005608: E05D1000 800200CC
	s_add_u32 m0, s70, 0x1000                                  // 000000005610: 807CFF46 00001000
	buffer_load_dwordx4 v203, s[8:11], 0 offen offset:64 lds   // 000000005618: E05D1040 800200CB
	s_add_u32 m0, s70, 0x1410                                  // 000000005620: 807CFF46 00001410
	buffer_load_dwordx4 v204, s[8:11], 0 offen offset:64 lds   // 000000005628: E05D1040 800200CC
	s_sub_i32 s66, s59, s29                                    // 000000005630: 81C21D3B
	s_add_i32 s66, s66, s50                                    // 000000005634: 81423242
	s_addk_i32 s66, 0x1                                        // 000000005638: B7420001
	v_add_u32_e32 v194, s66, v196                              // 00000000563C: 69858842
	v_cmp_lt_i32_e64 vcc, v194, s43                            // 000000005640: D0C1006A 000057C2
	v_mov_b32_e32 v184, s43                                    // 000000005648: 7F70022B
	v_cndmask_b32_e32 v194, v184, v194, vcc                    // 00000000564C: 018585B8
	s_cmp_lt_i32 s66, s43                                      // 000000005650: BF042B42
	s_cselect_b32 s66, s66, s43                                // 000000005654: 85422B42
	s_and_b32 s69, s66, 0xffffff80                             // 000000005658: 8645FF42 FFFFFF80
	v_mov_b32_e32 v221, v220                                   // 000000005660: 7FBA03DC
	v_and_b32_e32 v184, 7, v0                                  // 000000005664: 27700087
	v_lshlrev_b32_e32 v213, 4, v184                            // 000000005668: 25AB7084
	s_waitcnt vmcnt(0)                                         // 00000000566C: BF8C0F70
	v_mul_i32_i24_dpp v184, v181, v223 quad_perm:[0,0,0,0] row_mask:0xf bank_mask:0xf// 000000005670: 0D71BEFA FF0000B5
	v_mul_i32_i24_dpp v185, v181, v223 quad_perm:[1,1,1,1] row_mask:0xf bank_mask:0xf// 000000005678: 0D73BEFA FF0055B5
	v_mul_i32_i24_dpp v186, v181, v223 quad_perm:[2,2,2,2] row_mask:0xf bank_mask:0xf// 000000005680: 0D75BEFA FF00AAB5
	v_mul_i32_i24_dpp v187, v181, v223 quad_perm:[3,3,3,3] row_mask:0xf bank_mask:0xf// 000000005688: 0D77BEFA FF00FFB5
	v_add_u32_e32 v214, v213, v184                             // 000000005690: 69AD71D5
	v_add_u32_e32 v215, v213, v185                             // 000000005694: 69AF73D5
	v_add_u32_e32 v216, v213, v186                             // 000000005698: 69B175D5
	v_add_u32_e32 v217, v213, v187                             // 00000000569C: 69B377D5
	s_add_u32 m0, s72, 0                                       // 0000000056A0: 807C8048
	buffer_load_dwordx4 v214, s[16:19], 0 offen lds            // 0000000056A4: E05D1000 800400D6
	s_add_u32 m0, s72, 0x410                                   // 0000000056AC: 807CFF48 00000410
	buffer_load_dwordx4 v215, s[16:19], 0 offen lds            // 0000000056B4: E05D1000 800400D7
	s_add_u32 m0, s72, 0x820                                   // 0000000056BC: 807CFF48 00000820
	buffer_load_dwordx4 v216, s[16:19], 0 offen lds            // 0000000056C4: E05D1000 800400D8
	s_add_u32 m0, s72, 0xc30                                   // 0000000056CC: 807CFF48 00000C30
	buffer_load_dwordx4 v217, s[16:19], 0 offen lds            // 0000000056D4: E05D1000 800400D9
	s_waitcnt vmcnt(4)                                         // 0000000056DC: BF8C0F74
	s_barrier                                                  // 0000000056E0: BF8A0000
	ds_read_b128 v[4:7], v205                                  // 0000000056E4: D9FE0000 040000CD
	ds_read_b128 v[8:11], v205 offset:32                       // 0000000056EC: D9FE0020 080000CD
	ds_read_b128 v[12:15], v205 offset:4160                    // 0000000056F4: D9FE1040 0C0000CD
	ds_read_b128 v[16:19], v205 offset:4192                    // 0000000056FC: D9FE1060 100000CD
	s_barrier                                                  // 000000005704: BF8A0000
	s_waitcnt vmcnt(0)                                         // 000000005708: BF8C0F70
	s_barrier                                                  // 00000000570C: BF8A0000
	s_barrier                                                  // 000000005710: BF8A0000
	s_barrier                                                  // 000000005714: BF8A0000
	;; [unrolled: 1-line block ×3, first 2 shown]
	s_setprio 1                                                // 00000000571C: BF8F0001
	ds_read_b128 v[20:23], v218                                // 000000005720: D9FE0000 140000DA
	ds_read_b128 v[24:27], v218 offset:32                      // 000000005728: D9FE0020 180000DA
	ds_read_b128 v[28:31], v218 offset:4160                    // 000000005730: D9FE1040 1C0000DA
	ds_read_b128 v[32:35], v218 offset:4192                    // 000000005738: D9FE1060 200000DA

0000000000005740 <label_1B40>:
	s_cmp_lt_i32 s68, s69                                      // 000000005740: BF044544
	s_cbranch_scc0 label_4970                                  // 000000005744: BF840B8A
	s_waitcnt lgkmcnt(2)                                       // 000000005748: BF8CC27F
	v_mfma_f32_32x32x64_f8f6f4 v[52:67], v[20:27], v[4:11], 0  // 00000000574C: D3AE0034 02020914
	v_mul_i32_i24_dpp v184, v182, v223 quad_perm:[0,0,0,0] row_mask:0xf bank_mask:0xf// 000000005754: 0D71BEFA FF0000B6
	v_mul_i32_i24_dpp v185, v182, v223 quad_perm:[1,1,1,1] row_mask:0xf bank_mask:0xf// 00000000575C: 0D73BEFA FF0055B6
	v_mul_i32_i24_dpp v186, v182, v223 quad_perm:[2,2,2,2] row_mask:0xf bank_mask:0xf// 000000005764: 0D75BEFA FF00AAB6
	v_mul_i32_i24_dpp v187, v182, v223 quad_perm:[3,3,3,3] row_mask:0xf bank_mask:0xf// 00000000576C: 0D77BEFA FF00FFB6
	v_add_u32_e32 v214, v213, v184                             // 000000005774: 69AD71D5
	v_add_u32_e32 v215, v213, v185                             // 000000005778: 69AF73D5
	v_add_u32_e32 v216, v213, v186                             // 00000000577C: 69B175D5
	v_add_u32_e32 v217, v213, v187                             // 000000005780: 69B377D5
	ds_read_b128 v[36:39], v218 offset:512                     // 000000005784: D9FE0200 240000DA
	ds_read_b128 v[40:43], v218 offset:544                     // 00000000578C: D9FE0220 280000DA
	s_waitcnt lgkmcnt(2)                                       // 000000005794: BF8CC27F
	v_mfma_f32_32x32x64_f8f6f4 v[52:67], v[28:35], v[12:19], v[52:67]// 000000005798: D3AE0034 04D2191C
	s_add_u32 m0, s72, 0x4100                                  // 0000000057A0: 807CFF48 00004100
	buffer_load_dwordx4 v214, s[16:19], 0 offen lds            // 0000000057A8: E05D1000 800400D6
	ds_read_b128 v[44:47], v218 offset:4672                    // 0000000057B0: D9FE1240 2C0000DA
	ds_read_b128 v[48:51], v218 offset:4704                    // 0000000057B8: D9FE1260 300000DA
	s_waitcnt lgkmcnt(2)                                       // 0000000057C0: BF8CC27F
	v_mfma_f32_32x32x64_f8f6f4 v[68:83], v[36:43], v[4:11], 0  // 0000000057C4: D3AE0044 02020924
	s_add_u32 m0, s72, 0x4510                                  // 0000000057CC: 807CFF48 00004510
	buffer_load_dwordx4 v215, s[16:19], 0 offen lds            // 0000000057D4: E05D1000 800400D7
	ds_read_b128 v[20:23], v218 offset:8320                    // 0000000057DC: D9FE2080 140000DA
	ds_read_b128 v[24:27], v218 offset:8352                    // 0000000057E4: D9FE20A0 180000DA
	s_waitcnt lgkmcnt(2)                                       // 0000000057EC: BF8CC27F
	v_mfma_f32_32x32x64_f8f6f4 v[68:83], v[44:51], v[12:19], v[68:83]// 0000000057F0: D3AE0044 0512192C
	s_add_u32 m0, s72, 0x4920                                  // 0000000057F8: 807CFF48 00004920
	buffer_load_dwordx4 v216, s[16:19], 0 offen lds            // 000000005800: E05D1000 800400D8
	ds_read_b128 v[28:31], v218 offset:12480                   // 000000005808: D9FE30C0 1C0000DA
	ds_read_b128 v[32:35], v218 offset:12512                   // 000000005810: D9FE30E0 200000DA
	s_waitcnt lgkmcnt(2)                                       // 000000005818: BF8CC27F
	v_mfma_f32_32x32x64_f8f6f4 v[84:99], v[20:27], v[4:11], 0  // 00000000581C: D3AE0054 02020914
	s_add_u32 m0, s72, 0x4d30                                  // 000000005824: 807CFF48 00004D30
	buffer_load_dwordx4 v217, s[16:19], 0 offen lds            // 00000000582C: E05D1000 800400D9
	ds_read_b128 v[36:39], v218 offset:8832                    // 000000005834: D9FE2280 240000DA
	ds_read_b128 v[40:43], v218 offset:8864                    // 00000000583C: D9FE22A0 280000DA
	s_waitcnt lgkmcnt(2)                                       // 000000005844: BF8CC27F
	v_mfma_f32_32x32x64_f8f6f4 v[84:99], v[28:35], v[12:19], v[84:99]// 000000005848: D3AE0054 0552191C
	v_lshrrev_b32_e32 v181, 2, v209                            // 000000005850: 216BA282
	ds_read_b128 v[44:47], v218 offset:12992                   // 000000005854: D9FE32C0 2C0000DA
	ds_read_b128 v[48:51], v218 offset:13024                   // 00000000585C: D9FE32E0 300000DA
	s_waitcnt lgkmcnt(2)                                       // 000000005864: BF8CC27F
	v_mfma_f32_32x32x64_f8f6f4 v[100:115], v[36:43], v[4:11], 0// 000000005868: D3AE0064 02020924
	v_add_u32_e32 v184, 0x200, v209                            // 000000005870: 6971A2FF 00000200
	v_lshrrev_b32_e32 v182, 2, v184                            // 000000005878: 216D7082
	v_add_u32_e32 v209, 0x400, v209                            // 00000000587C: 69A3A2FF 00000400
	ds_read_b64_tr_b8 v[20:21], v219                           // 000000005884: D9C40000 140000DB
	ds_read_b64_tr_b8 v[22:23], v219 offset:256                // 00000000588C: D9C40100 160000DB
	ds_read_b64_tr_b8 v[24:25], v219 offset:512                // 000000005894: D9C40200 180000DB
	ds_read_b64_tr_b8 v[26:27], v219 offset:768                // 00000000589C: D9C40300 1A0000DB
	s_waitcnt lgkmcnt(4)                                       // 0000000058A4: BF8CC47F
	v_mfma_f32_32x32x64_f8f6f4 v[100:115], v[44:51], v[12:19], v[100:115]// 0000000058A8: D3AE0064 0592192C
	ds_read_b64_tr_b8 v[28:29], v219 offset:8320               // 0000000058B0: D9C42080 1C0000DB
	ds_read_b64_tr_b8 v[30:31], v219 offset:8576               // 0000000058B8: D9C42180 1E0000DB
	ds_read_b64_tr_b8 v[32:33], v219 offset:8832               // 0000000058C0: D9C42280 200000DB
	ds_read_b64_tr_b8 v[34:35], v219 offset:9088               // 0000000058C8: D9C42380 220000DB
	s_nop 5                                                    // 0000000058D0: BF800005
	s_barrier                                                  // 0000000058D4: BF8A0000
	s_setprio 0                                                // 0000000058D8: BF8F0000
	s_barrier                                                  // 0000000058DC: BF8A0000
	v_mov_b32_e32 v193, v192                                   // 0000000058E0: 7F8203C0
	v_max3_f32 v193, v52, v53, v193                            // 0000000058E4: D1D300C1 07066B34
	v_max3_f32 v193, v54, v55, v193                            // 0000000058EC: D1D300C1 07066F36
	v_max3_f32 v193, v56, v57, v193                            // 0000000058F4: D1D300C1 07067338
	v_max3_f32 v193, v58, v59, v193                            // 0000000058FC: D1D300C1 0706773A
	v_max3_f32 v193, v60, v61, v193                            // 000000005904: D1D300C1 07067B3C
	v_max3_f32 v193, v62, v63, v193                            // 00000000590C: D1D300C1 07067F3E
	v_max3_f32 v193, v64, v65, v193                            // 000000005914: D1D300C1 07068340
	v_max3_f32 v193, v66, v67, v193                            // 00000000591C: D1D300C1 07068742
	v_max3_f32 v193, v68, v69, v193                            // 000000005924: D1D300C1 07068B44
	v_max3_f32 v193, v70, v71, v193                            // 00000000592C: D1D300C1 07068F46
	v_max3_f32 v193, v72, v73, v193                            // 000000005934: D1D300C1 07069348
	v_max3_f32 v193, v74, v75, v193                            // 00000000593C: D1D300C1 0706974A
	v_max3_f32 v193, v76, v77, v193                            // 000000005944: D1D300C1 07069B4C
	v_max3_f32 v193, v78, v79, v193                            // 00000000594C: D1D300C1 07069F4E
	v_max3_f32 v193, v80, v81, v193                            // 000000005954: D1D300C1 0706A350
	v_max3_f32 v193, v82, v83, v193                            // 00000000595C: D1D300C1 0706A752
	v_max3_f32 v193, v84, v85, v193                            // 000000005964: D1D300C1 0706AB54
	v_max3_f32 v193, v86, v87, v193                            // 00000000596C: D1D300C1 0706AF56
	v_max3_f32 v193, v88, v89, v193                            // 000000005974: D1D300C1 0706B358
	v_max3_f32 v193, v90, v91, v193                            // 00000000597C: D1D300C1 0706B75A
	v_max3_f32 v193, v92, v93, v193                            // 000000005984: D1D300C1 0706BB5C
	v_max3_f32 v193, v94, v95, v193                            // 00000000598C: D1D300C1 0706BF5E
	v_max3_f32 v193, v96, v97, v193                            // 000000005994: D1D300C1 0706C360
	v_max3_f32 v193, v98, v99, v193                            // 00000000599C: D1D300C1 0706C762
	v_max3_f32 v193, v100, v101, v193                          // 0000000059A4: D1D300C1 0706CB64
	v_max3_f32 v193, v102, v103, v193                          // 0000000059AC: D1D300C1 0706CF66
	v_max3_f32 v193, v104, v105, v193                          // 0000000059B4: D1D300C1 0706D368
	v_max3_f32 v193, v106, v107, v193                          // 0000000059BC: D1D300C1 0706D76A
	v_max3_f32 v193, v108, v109, v193                          // 0000000059C4: D1D300C1 0706DB6C
	v_max3_f32 v193, v110, v111, v193                          // 0000000059CC: D1D300C1 0706DF6E
	v_max3_f32 v193, v112, v113, v193                          // 0000000059D4: D1D300C1 0706E370
	v_max3_f32 v193, v114, v115, v193                          // 0000000059DC: D1D300C1 0706E772
	v_mov_b32_e32 v184, v193                                   // 0000000059E4: 7F7003C1
	s_nop 1                                                    // 0000000059E8: BF800001
	s_nop 0                                                    // 0000000059EC: BF800000
	v_permlane32_swap_b32_e32 v184, v193                       // 0000000059F0: 7F70B5C1
	v_max_f32_e32 v193, v193, v184                             // 0000000059F4: 178371C1
	v_cmp_eq_u32_e64 s[66:67], v197, v193                      // 0000000059F8: D0CA0042 000383C5
	s_nop 0                                                    // 000000005A00: BF800000
	v_cndmask_b32_e64 v193, v193, 0, s[66:67]                  // 000000005A04: D10000C1 010901C1
	v_mul_f32_e64 v184, -s26, v193                             // 000000005A0C: D10500B8 2003821A
	v_mov_b32_e32 v185, v184                                   // 000000005A14: 7F7203B8
	v_pk_fma_f32 v[52:53], v[52:53], s[26:27], v[184:185]      // 000000005A18: D3B04034 1EE03534
	v_pk_fma_f32 v[54:55], v[54:55], s[26:27], v[184:185]      // 000000005A20: D3B04036 1EE03536
	v_pk_fma_f32 v[56:57], v[56:57], s[26:27], v[184:185]      // 000000005A28: D3B04038 1EE03538
	v_pk_fma_f32 v[58:59], v[58:59], s[26:27], v[184:185]      // 000000005A30: D3B0403A 1EE0353A
	v_pk_fma_f32 v[60:61], v[60:61], s[26:27], v[184:185]      // 000000005A38: D3B0403C 1EE0353C
	v_pk_fma_f32 v[62:63], v[62:63], s[26:27], v[184:185]      // 000000005A40: D3B0403E 1EE0353E
	v_pk_fma_f32 v[64:65], v[64:65], s[26:27], v[184:185]      // 000000005A48: D3B04040 1EE03540
	v_pk_fma_f32 v[66:67], v[66:67], s[26:27], v[184:185]      // 000000005A50: D3B04042 1EE03542
	v_pk_fma_f32 v[68:69], v[68:69], s[26:27], v[184:185]      // 000000005A58: D3B04044 1EE03544
	v_pk_fma_f32 v[70:71], v[70:71], s[26:27], v[184:185]      // 000000005A60: D3B04046 1EE03546
	v_pk_fma_f32 v[72:73], v[72:73], s[26:27], v[184:185]      // 000000005A68: D3B04048 1EE03548
	v_pk_fma_f32 v[74:75], v[74:75], s[26:27], v[184:185]      // 000000005A70: D3B0404A 1EE0354A
	v_pk_fma_f32 v[76:77], v[76:77], s[26:27], v[184:185]      // 000000005A78: D3B0404C 1EE0354C
	v_pk_fma_f32 v[78:79], v[78:79], s[26:27], v[184:185]      // 000000005A80: D3B0404E 1EE0354E
	v_pk_fma_f32 v[80:81], v[80:81], s[26:27], v[184:185]      // 000000005A88: D3B04050 1EE03550
	v_pk_fma_f32 v[82:83], v[82:83], s[26:27], v[184:185]      // 000000005A90: D3B04052 1EE03552
	v_pk_fma_f32 v[84:85], v[84:85], s[26:27], v[184:185]      // 000000005A98: D3B04054 1EE03554
	v_pk_fma_f32 v[86:87], v[86:87], s[26:27], v[184:185]      // 000000005AA0: D3B04056 1EE03556
	v_pk_fma_f32 v[88:89], v[88:89], s[26:27], v[184:185]      // 000000005AA8: D3B04058 1EE03558
	v_pk_fma_f32 v[90:91], v[90:91], s[26:27], v[184:185]      // 000000005AB0: D3B0405A 1EE0355A
	v_pk_fma_f32 v[92:93], v[92:93], s[26:27], v[184:185]      // 000000005AB8: D3B0405C 1EE0355C
	v_pk_fma_f32 v[94:95], v[94:95], s[26:27], v[184:185]      // 000000005AC0: D3B0405E 1EE0355E
	v_pk_fma_f32 v[96:97], v[96:97], s[26:27], v[184:185]      // 000000005AC8: D3B04060 1EE03560
	v_pk_fma_f32 v[98:99], v[98:99], s[26:27], v[184:185]      // 000000005AD0: D3B04062 1EE03562
	v_pk_fma_f32 v[100:101], v[100:101], s[26:27], v[184:185]  // 000000005AD8: D3B04064 1EE03564
	v_pk_fma_f32 v[102:103], v[102:103], s[26:27], v[184:185]  // 000000005AE0: D3B04066 1EE03566
	v_pk_fma_f32 v[104:105], v[104:105], s[26:27], v[184:185]  // 000000005AE8: D3B04068 1EE03568
	v_pk_fma_f32 v[106:107], v[106:107], s[26:27], v[184:185]  // 000000005AF0: D3B0406A 1EE0356A
	v_pk_fma_f32 v[108:109], v[108:109], s[26:27], v[184:185]  // 000000005AF8: D3B0406C 1EE0356C
	v_pk_fma_f32 v[110:111], v[110:111], s[26:27], v[184:185]  // 000000005B00: D3B0406E 1EE0356E
	v_pk_fma_f32 v[112:113], v[112:113], s[26:27], v[184:185]  // 000000005B08: D3B04070 1EE03570
	v_pk_fma_f32 v[114:115], v[114:115], s[26:27], v[184:185]  // 000000005B10: D3B04072 1EE03572
	s_barrier                                                  // 000000005B18: BF8A0000
	v_exp_f32_e32 v52, v52                                     // 000000005B1C: 7E684134
	v_exp_f32_e32 v53, v53                                     // 000000005B20: 7E6A4135
	v_exp_f32_e32 v54, v54                                     // 000000005B24: 7E6C4136
	v_exp_f32_e32 v55, v55                                     // 000000005B28: 7E6E4137
	v_exp_f32_e32 v56, v56                                     // 000000005B2C: 7E704138
	v_exp_f32_e32 v57, v57                                     // 000000005B30: 7E724139
	v_exp_f32_e32 v58, v58                                     // 000000005B34: 7E74413A
	v_exp_f32_e32 v59, v59                                     // 000000005B38: 7E76413B
	v_exp_f32_e32 v60, v60                                     // 000000005B3C: 7E78413C
	v_exp_f32_e32 v61, v61                                     // 000000005B40: 7E7A413D
	v_exp_f32_e32 v62, v62                                     // 000000005B44: 7E7C413E
	v_exp_f32_e32 v63, v63                                     // 000000005B48: 7E7E413F
	v_exp_f32_e32 v64, v64                                     // 000000005B4C: 7E804140
	v_exp_f32_e32 v65, v65                                     // 000000005B50: 7E824141
	v_exp_f32_e32 v66, v66                                     // 000000005B54: 7E844142
	v_exp_f32_e32 v67, v67                                     // 000000005B58: 7E864143
	v_exp_f32_e32 v68, v68                                     // 000000005B5C: 7E884144
	v_exp_f32_e32 v69, v69                                     // 000000005B60: 7E8A4145
	v_exp_f32_e32 v70, v70                                     // 000000005B64: 7E8C4146
	v_exp_f32_e32 v71, v71                                     // 000000005B68: 7E8E4147
	v_exp_f32_e32 v72, v72                                     // 000000005B6C: 7E904148
	v_exp_f32_e32 v73, v73                                     // 000000005B70: 7E924149
	v_exp_f32_e32 v74, v74                                     // 000000005B74: 7E94414A
	v_exp_f32_e32 v75, v75                                     // 000000005B78: 7E96414B
	v_exp_f32_e32 v76, v76                                     // 000000005B7C: 7E98414C
	v_exp_f32_e32 v77, v77                                     // 000000005B80: 7E9A414D
	v_exp_f32_e32 v78, v78                                     // 000000005B84: 7E9C414E
	v_exp_f32_e32 v79, v79                                     // 000000005B88: 7E9E414F
	v_exp_f32_e32 v80, v80                                     // 000000005B8C: 7EA04150
	v_exp_f32_e32 v81, v81                                     // 000000005B90: 7EA24151
	v_exp_f32_e32 v82, v82                                     // 000000005B94: 7EA44152
	v_exp_f32_e32 v83, v83                                     // 000000005B98: 7EA64153
	v_exp_f32_e32 v84, v84                                     // 000000005B9C: 7EA84154
	v_exp_f32_e32 v85, v85                                     // 000000005BA0: 7EAA4155
	v_exp_f32_e32 v86, v86                                     // 000000005BA4: 7EAC4156
	v_exp_f32_e32 v87, v87                                     // 000000005BA8: 7EAE4157
	v_exp_f32_e32 v88, v88                                     // 000000005BAC: 7EB04158
	v_exp_f32_e32 v89, v89                                     // 000000005BB0: 7EB24159
	v_exp_f32_e32 v90, v90                                     // 000000005BB4: 7EB4415A
	v_exp_f32_e32 v91, v91                                     // 000000005BB8: 7EB6415B
	v_exp_f32_e32 v92, v92                                     // 000000005BBC: 7EB8415C
	v_exp_f32_e32 v93, v93                                     // 000000005BC0: 7EBA415D
	v_exp_f32_e32 v94, v94                                     // 000000005BC4: 7EBC415E
	v_exp_f32_e32 v95, v95                                     // 000000005BC8: 7EBE415F
	v_exp_f32_e32 v96, v96                                     // 000000005BCC: 7EC04160
	v_exp_f32_e32 v97, v97                                     // 000000005BD0: 7EC24161
	v_exp_f32_e32 v98, v98                                     // 000000005BD4: 7EC44162
	v_exp_f32_e32 v99, v99                                     // 000000005BD8: 7EC64163
	v_exp_f32_e32 v100, v100                                   // 000000005BDC: 7EC84164
	v_exp_f32_e32 v101, v101                                   // 000000005BE0: 7ECA4165
	v_exp_f32_e32 v102, v102                                   // 000000005BE4: 7ECC4166
	v_exp_f32_e32 v103, v103                                   // 000000005BE8: 7ECE4167
	v_exp_f32_e32 v104, v104                                   // 000000005BEC: 7ED04168
	v_exp_f32_e32 v105, v105                                   // 000000005BF0: 7ED24169
	v_exp_f32_e32 v106, v106                                   // 000000005BF4: 7ED4416A
	v_exp_f32_e32 v107, v107                                   // 000000005BF8: 7ED6416B
	v_exp_f32_e32 v108, v108                                   // 000000005BFC: 7ED8416C
	v_exp_f32_e32 v109, v109                                   // 000000005C00: 7EDA416D
	v_exp_f32_e32 v110, v110                                   // 000000005C04: 7EDC416E
	v_exp_f32_e32 v111, v111                                   // 000000005C08: 7EDE416F
	v_exp_f32_e32 v112, v112                                   // 000000005C0C: 7EE04170
	v_exp_f32_e32 v113, v113                                   // 000000005C10: 7EE24171
	v_exp_f32_e32 v114, v114                                   // 000000005C14: 7EE44172
	v_exp_f32_e32 v115, v115                                   // 000000005C18: 7EE64173
	v_sub_f32_e32 v188, v192, v193                             // 000000005C1C: 057983C0
	v_cmp_eq_u32_e64 s[66:67], v197, v192                      // 000000005C20: D0CA0042 000381C5
	s_nop 0                                                    // 000000005C28: BF800000
	v_cndmask_b32_e64 v188, v188, 0, s[66:67]                  // 000000005C2C: D10000BC 010901BC
	v_mov_b32_e32 v192, v193                                   // 000000005C34: 7F8003C1
	v_mul_f32_e32 v188, s26, v188                              // 000000005C38: 0B79781A
	v_exp_f32_e32 v188, v188                                   // 000000005C3C: 7F7841BC
	s_nop 0                                                    // 000000005C40: BF800000
	v_mul_f32_e32 v190, v188, v190                             // 000000005C44: 0B7D7DBC
	v_add_f32_e32 v190, v52, v190                              // 000000005C48: 037D7D34
	v_add_f32_e32 v190, v53, v190                              // 000000005C4C: 037D7D35
	v_add_f32_e32 v190, v54, v190                              // 000000005C50: 037D7D36
	v_add_f32_e32 v190, v55, v190                              // 000000005C54: 037D7D37
	v_add_f32_e32 v190, v56, v190                              // 000000005C58: 037D7D38
	v_add_f32_e32 v190, v57, v190                              // 000000005C5C: 037D7D39
	v_add_f32_e32 v190, v58, v190                              // 000000005C60: 037D7D3A
	v_add_f32_e32 v190, v59, v190                              // 000000005C64: 037D7D3B
	v_add_f32_e32 v190, v60, v190                              // 000000005C68: 037D7D3C
	v_add_f32_e32 v190, v61, v190                              // 000000005C6C: 037D7D3D
	v_add_f32_e32 v190, v62, v190                              // 000000005C70: 037D7D3E
	v_add_f32_e32 v190, v63, v190                              // 000000005C74: 037D7D3F
	v_add_f32_e32 v190, v64, v190                              // 000000005C78: 037D7D40
	v_add_f32_e32 v190, v65, v190                              // 000000005C7C: 037D7D41
	v_add_f32_e32 v190, v66, v190                              // 000000005C80: 037D7D42
	v_add_f32_e32 v190, v67, v190                              // 000000005C84: 037D7D43
	v_add_f32_e32 v190, v68, v190                              // 000000005C88: 037D7D44
	v_add_f32_e32 v190, v69, v190                              // 000000005C8C: 037D7D45
	v_add_f32_e32 v190, v70, v190                              // 000000005C90: 037D7D46
	v_add_f32_e32 v190, v71, v190                              // 000000005C94: 037D7D47
	v_add_f32_e32 v190, v72, v190                              // 000000005C98: 037D7D48
	v_add_f32_e32 v190, v73, v190                              // 000000005C9C: 037D7D49
	v_add_f32_e32 v190, v74, v190                              // 000000005CA0: 037D7D4A
	v_add_f32_e32 v190, v75, v190                              // 000000005CA4: 037D7D4B
	v_add_f32_e32 v190, v76, v190                              // 000000005CA8: 037D7D4C
	v_add_f32_e32 v190, v77, v190                              // 000000005CAC: 037D7D4D
	v_add_f32_e32 v190, v78, v190                              // 000000005CB0: 037D7D4E
	v_add_f32_e32 v190, v79, v190                              // 000000005CB4: 037D7D4F
	v_add_f32_e32 v190, v80, v190                              // 000000005CB8: 037D7D50
	v_add_f32_e32 v190, v81, v190                              // 000000005CBC: 037D7D51
	v_add_f32_e32 v190, v82, v190                              // 000000005CC0: 037D7D52
	v_add_f32_e32 v190, v83, v190                              // 000000005CC4: 037D7D53
	v_add_f32_e32 v190, v84, v190                              // 000000005CC8: 037D7D54
	v_add_f32_e32 v190, v85, v190                              // 000000005CCC: 037D7D55
	v_add_f32_e32 v190, v86, v190                              // 000000005CD0: 037D7D56
	v_add_f32_e32 v190, v87, v190                              // 000000005CD4: 037D7D57
	v_add_f32_e32 v190, v88, v190                              // 000000005CD8: 037D7D58
	v_add_f32_e32 v190, v89, v190                              // 000000005CDC: 037D7D59
	v_add_f32_e32 v190, v90, v190                              // 000000005CE0: 037D7D5A
	v_add_f32_e32 v190, v91, v190                              // 000000005CE4: 037D7D5B
	v_add_f32_e32 v190, v92, v190                              // 000000005CE8: 037D7D5C
	v_add_f32_e32 v190, v93, v190                              // 000000005CEC: 037D7D5D
	v_add_f32_e32 v190, v94, v190                              // 000000005CF0: 037D7D5E
	v_add_f32_e32 v190, v95, v190                              // 000000005CF4: 037D7D5F
	v_add_f32_e32 v190, v96, v190                              // 000000005CF8: 037D7D60
	v_add_f32_e32 v190, v97, v190                              // 000000005CFC: 037D7D61
	v_add_f32_e32 v190, v98, v190                              // 000000005D00: 037D7D62
	v_add_f32_e32 v190, v99, v190                              // 000000005D04: 037D7D63
	v_add_f32_e32 v190, v100, v190                             // 000000005D08: 037D7D64
	v_add_f32_e32 v190, v101, v190                             // 000000005D0C: 037D7D65
	v_add_f32_e32 v190, v102, v190                             // 000000005D10: 037D7D66
	v_add_f32_e32 v190, v103, v190                             // 000000005D14: 037D7D67
	v_add_f32_e32 v190, v104, v190                             // 000000005D18: 037D7D68
	v_add_f32_e32 v190, v105, v190                             // 000000005D1C: 037D7D69
	v_add_f32_e32 v190, v106, v190                             // 000000005D20: 037D7D6A
	v_add_f32_e32 v190, v107, v190                             // 000000005D24: 037D7D6B
	v_add_f32_e32 v190, v108, v190                             // 000000005D28: 037D7D6C
	v_add_f32_e32 v190, v109, v190                             // 000000005D2C: 037D7D6D
	v_add_f32_e32 v190, v110, v190                             // 000000005D30: 037D7D6E
	v_add_f32_e32 v190, v111, v190                             // 000000005D34: 037D7D6F
	v_add_f32_e32 v190, v112, v190                             // 000000005D38: 037D7D70
	v_add_f32_e32 v190, v113, v190                             // 000000005D3C: 037D7D71
	v_add_f32_e32 v190, v114, v190                             // 000000005D40: 037D7D72
	v_add_f32_e32 v190, v115, v190                             // 000000005D44: 037D7D73
	v_mul_f32_e32 v116, v188, v116                             // 000000005D48: 0AE8E9BC
	v_mul_f32_e32 v117, v188, v117                             // 000000005D4C: 0AEAEBBC
	v_mul_f32_e32 v118, v188, v118                             // 000000005D50: 0AECEDBC
	v_mul_f32_e32 v119, v188, v119                             // 000000005D54: 0AEEEFBC
	v_mul_f32_e32 v120, v188, v120                             // 000000005D58: 0AF0F1BC
	v_mul_f32_e32 v121, v188, v121                             // 000000005D5C: 0AF2F3BC
	v_mul_f32_e32 v122, v188, v122                             // 000000005D60: 0AF4F5BC
	v_mul_f32_e32 v123, v188, v123                             // 000000005D64: 0AF6F7BC
	v_mul_f32_e32 v124, v188, v124                             // 000000005D68: 0AF8F9BC
	v_mul_f32_e32 v125, v188, v125                             // 000000005D6C: 0AFAFBBC
	v_mul_f32_e32 v126, v188, v126                             // 000000005D70: 0AFCFDBC
	v_mul_f32_e32 v127, v188, v127                             // 000000005D74: 0AFEFFBC
	v_mul_f32_e32 v128, v188, v128                             // 000000005D78: 0B0101BC
	v_mul_f32_e32 v129, v188, v129                             // 000000005D7C: 0B0303BC
	v_mul_f32_e32 v130, v188, v130                             // 000000005D80: 0B0505BC
	v_mul_f32_e32 v131, v188, v131                             // 000000005D84: 0B0707BC
	v_mul_f32_e32 v132, v188, v132                             // 000000005D88: 0B0909BC
	v_mul_f32_e32 v133, v188, v133                             // 000000005D8C: 0B0B0BBC
	v_mul_f32_e32 v134, v188, v134                             // 000000005D90: 0B0D0DBC
	v_mul_f32_e32 v135, v188, v135                             // 000000005D94: 0B0F0FBC
	v_mul_f32_e32 v136, v188, v136                             // 000000005D98: 0B1111BC
	v_mul_f32_e32 v137, v188, v137                             // 000000005D9C: 0B1313BC
	v_mul_f32_e32 v138, v188, v138                             // 000000005DA0: 0B1515BC
	v_mul_f32_e32 v139, v188, v139                             // 000000005DA4: 0B1717BC
	v_mul_f32_e32 v140, v188, v140                             // 000000005DA8: 0B1919BC
	s_waitcnt vmcnt(0)                                         // 000000005DAC: BF8C0F70
	s_barrier                                                  // 000000005DB0: BF8A0000
	v_mul_f32_e32 v141, v188, v141                             // 000000005DB4: 0B1B1BBC
	v_mul_f32_e32 v142, v188, v142                             // 000000005DB8: 0B1D1DBC
	v_mul_f32_e32 v143, v188, v143                             // 000000005DBC: 0B1F1FBC
	v_mul_f32_e32 v144, v188, v144                             // 000000005DC0: 0B2121BC
	v_mul_f32_e32 v145, v188, v145                             // 000000005DC4: 0B2323BC
	v_mul_f32_e32 v146, v188, v146                             // 000000005DC8: 0B2525BC
	v_mul_f32_e32 v147, v188, v147                             // 000000005DCC: 0B2727BC
	v_mul_f32_e32 v148, v188, v148                             // 000000005DD0: 0B2929BC
	v_mul_f32_e32 v149, v188, v149                             // 000000005DD4: 0B2B2BBC
	v_mul_f32_e32 v150, v188, v150                             // 000000005DD8: 0B2D2DBC
	v_mul_f32_e32 v151, v188, v151                             // 000000005DDC: 0B2F2FBC
	v_mul_f32_e32 v152, v188, v152                             // 000000005DE0: 0B3131BC
	v_mul_f32_e32 v153, v188, v153                             // 000000005DE4: 0B3333BC
	v_mul_f32_e32 v154, v188, v154                             // 000000005DE8: 0B3535BC
	v_mul_f32_e32 v155, v188, v155                             // 000000005DEC: 0B3737BC
	v_mul_f32_e32 v156, v188, v156                             // 000000005DF0: 0B3939BC
	v_mul_f32_e32 v157, v188, v157                             // 000000005DF4: 0B3B3BBC
	v_mul_f32_e32 v158, v188, v158                             // 000000005DF8: 0B3D3DBC
	v_mul_f32_e32 v159, v188, v159                             // 000000005DFC: 0B3F3FBC
	v_mul_f32_e32 v160, v188, v160                             // 000000005E00: 0B4141BC
	v_mul_f32_e32 v161, v188, v161                             // 000000005E04: 0B4343BC
	v_mul_f32_e32 v162, v188, v162                             // 000000005E08: 0B4545BC
	v_mul_f32_e32 v163, v188, v163                             // 000000005E0C: 0B4747BC
	v_mul_f32_e32 v164, v188, v164                             // 000000005E10: 0B4949BC
	v_mul_f32_e32 v165, v188, v165                             // 000000005E14: 0B4B4BBC
	v_mul_f32_e32 v166, v188, v166                             // 000000005E18: 0B4D4DBC
	v_mul_f32_e32 v167, v188, v167                             // 000000005E1C: 0B4F4FBC
	v_mul_f32_e32 v168, v188, v168                             // 000000005E20: 0B5151BC
	v_mul_f32_e32 v169, v188, v169                             // 000000005E24: 0B5353BC
	v_mul_f32_e32 v170, v188, v170                             // 000000005E28: 0B5555BC
	v_mul_f32_e32 v171, v188, v171                             // 000000005E2C: 0B5757BC
	v_mul_f32_e32 v172, v188, v172                             // 000000005E30: 0B5959BC
	v_mul_f32_e32 v173, v188, v173                             // 000000005E34: 0B5B5BBC
	v_mul_f32_e32 v174, v188, v174                             // 000000005E38: 0B5D5DBC
	v_mul_f32_e32 v175, v188, v175                             // 000000005E3C: 0B5F5FBC
	v_mul_f32_e32 v176, v188, v176                             // 000000005E40: 0B6161BC
	v_mul_f32_e32 v177, v188, v177                             // 000000005E44: 0B6363BC
	v_mul_f32_e32 v178, v188, v178                             // 000000005E48: 0B6565BC
	v_mul_f32_e32 v179, v188, v179                             // 000000005E4C: 0B6767BC
	s_barrier                                                  // 000000005E50: BF8A0000
	v_cvt_pk_fp8_f32 v52, v52, v53                             // 000000005E54: D2A20034 00026B34
	v_cvt_pk_fp8_f32 v52, v54, v55 op_sel:[0,0,1]              // 000000005E5C: D2A24034 00026F36
	v_cvt_pk_fp8_f32 v53, v56, v57                             // 000000005E64: D2A20035 00027338
	v_cvt_pk_fp8_f32 v53, v58, v59 op_sel:[0,0,1]              // 000000005E6C: D2A24035 0002773A
	v_cvt_pk_fp8_f32 v54, v60, v61                             // 000000005E74: D2A20036 00027B3C
	v_cvt_pk_fp8_f32 v54, v62, v63 op_sel:[0,0,1]              // 000000005E7C: D2A24036 00027F3E
	v_cvt_pk_fp8_f32 v55, v64, v65                             // 000000005E84: D2A20037 00028340
	v_cvt_pk_fp8_f32 v55, v66, v67 op_sel:[0,0,1]              // 000000005E8C: D2A24037 00028742
	v_cvt_pk_fp8_f32 v56, v68, v69                             // 000000005E94: D2A20038 00028B44
	v_cvt_pk_fp8_f32 v56, v70, v71 op_sel:[0,0,1]              // 000000005E9C: D2A24038 00028F46
	v_cvt_pk_fp8_f32 v57, v72, v73                             // 000000005EA4: D2A20039 00029348
	v_cvt_pk_fp8_f32 v57, v74, v75 op_sel:[0,0,1]              // 000000005EAC: D2A24039 0002974A
	v_cvt_pk_fp8_f32 v58, v76, v77                             // 000000005EB4: D2A2003A 00029B4C
	v_cvt_pk_fp8_f32 v58, v78, v79 op_sel:[0,0,1]              // 000000005EBC: D2A2403A 00029F4E
	v_cvt_pk_fp8_f32 v59, v80, v81                             // 000000005EC4: D2A2003B 0002A350
	v_cvt_pk_fp8_f32 v59, v82, v83 op_sel:[0,0,1]              // 000000005ECC: D2A2403B 0002A752
	v_cvt_pk_fp8_f32 v60, v84, v85                             // 000000005ED4: D2A2003C 0002AB54
	v_cvt_pk_fp8_f32 v60, v86, v87 op_sel:[0,0,1]              // 000000005EDC: D2A2403C 0002AF56
	v_cvt_pk_fp8_f32 v61, v88, v89                             // 000000005EE4: D2A2003D 0002B358
	v_cvt_pk_fp8_f32 v61, v90, v91 op_sel:[0,0,1]              // 000000005EEC: D2A2403D 0002B75A
	v_cvt_pk_fp8_f32 v62, v92, v93                             // 000000005EF4: D2A2003E 0002BB5C
	v_cvt_pk_fp8_f32 v62, v94, v95 op_sel:[0,0,1]              // 000000005EFC: D2A2403E 0002BF5E
	v_cvt_pk_fp8_f32 v63, v96, v97                             // 000000005F04: D2A2003F 0002C360
	v_cvt_pk_fp8_f32 v63, v98, v99 op_sel:[0,0,1]              // 000000005F0C: D2A2403F 0002C762
	v_cvt_pk_fp8_f32 v64, v100, v101                           // 000000005F14: D2A20040 0002CB64
	v_cvt_pk_fp8_f32 v64, v102, v103 op_sel:[0,0,1]            // 000000005F1C: D2A24040 0002CF66
	v_cvt_pk_fp8_f32 v65, v104, v105                           // 000000005F24: D2A20041 0002D368
	v_cvt_pk_fp8_f32 v65, v106, v107 op_sel:[0,0,1]            // 000000005F2C: D2A24041 0002D76A
	v_cvt_pk_fp8_f32 v66, v108, v109                           // 000000005F34: D2A20042 0002DB6C
	v_cvt_pk_fp8_f32 v66, v110, v111 op_sel:[0,0,1]            // 000000005F3C: D2A24042 0002DF6E
	v_cvt_pk_fp8_f32 v67, v112, v113                           // 000000005F44: D2A20043 0002E370
	v_cvt_pk_fp8_f32 v67, v114, v115 op_sel:[0,0,1]            // 000000005F4C: D2A24043 0002E772
	s_barrier                                                  // 000000005F54: BF8A0000
	s_waitcnt lgkmcnt(8)                                       // 000000005F58: BF8CC87F
	s_setprio 1                                                // 000000005F5C: BF8F0001
	s_barrier                                                  // 000000005F60: BF8A0000
	v_mfma_f32_32x32x64_f8f6f4 v[116:131], v[20:27], v[52:59], v[116:131]// 000000005F64: D3AE0074 05D26914
	ds_read_b64_tr_b8 v[36:37], v219 offset:32                 // 000000005F6C: D9C40020 240000DB
	ds_read_b64_tr_b8 v[38:39], v219 offset:288                // 000000005F74: D9C40120 260000DB
	ds_read_b64_tr_b8 v[40:41], v219 offset:544                // 000000005F7C: D9C40220 280000DB
	ds_read_b64_tr_b8 v[42:43], v219 offset:800                // 000000005F84: D9C40320 2A0000DB
	s_waitcnt lgkmcnt(8)                                       // 000000005F8C: BF8CC87F
	v_mfma_f32_32x32x64_f8f6f4 v[116:131], v[28:35], v[60:67], v[116:131]// 000000005F90: D3AE0074 05D2791C
	ds_read_b64_tr_b8 v[44:45], v219 offset:8352               // 000000005F98: D9C420A0 2C0000DB
	ds_read_b64_tr_b8 v[46:47], v219 offset:8608               // 000000005FA0: D9C421A0 2E0000DB
	ds_read_b64_tr_b8 v[48:49], v219 offset:8864               // 000000005FA8: D9C422A0 300000DB
	ds_read_b64_tr_b8 v[50:51], v219 offset:9120               // 000000005FB0: D9C423A0 320000DB
	s_waitcnt lgkmcnt(8)                                       // 000000005FB8: BF8CC87F
	v_mfma_f32_32x32x64_f8f6f4 v[132:147], v[36:43], v[52:59], v[132:147]// 000000005FBC: D3AE0084 06126924
	ds_read_b64_tr_b8 v[20:21], v219 offset:64                 // 000000005FC4: D9C40040 140000DB
	ds_read_b64_tr_b8 v[22:23], v219 offset:320                // 000000005FCC: D9C40140 160000DB
	ds_read_b64_tr_b8 v[24:25], v219 offset:576                // 000000005FD4: D9C40240 180000DB
	ds_read_b64_tr_b8 v[26:27], v219 offset:832                // 000000005FDC: D9C40340 1A0000DB
	s_waitcnt lgkmcnt(8)                                       // 000000005FE4: BF8CC87F
	v_mfma_f32_32x32x64_f8f6f4 v[132:147], v[44:51], v[60:67], v[132:147]// 000000005FE8: D3AE0084 0612792C
	ds_read_b64_tr_b8 v[28:29], v219 offset:8384               // 000000005FF0: D9C420C0 1C0000DB
	ds_read_b64_tr_b8 v[30:31], v219 offset:8640               // 000000005FF8: D9C421C0 1E0000DB
	ds_read_b64_tr_b8 v[32:33], v219 offset:8896               // 000000006000: D9C422C0 200000DB
	ds_read_b64_tr_b8 v[34:35], v219 offset:9152               // 000000006008: D9C423C0 220000DB
	s_waitcnt lgkmcnt(8)                                       // 000000006010: BF8CC87F
	v_mfma_f32_32x32x64_f8f6f4 v[148:163], v[20:27], v[52:59], v[148:163]// 000000006014: D3AE0094 06526914
	ds_read_b64_tr_b8 v[36:37], v219 offset:96                 // 00000000601C: D9C40060 240000DB
	ds_read_b64_tr_b8 v[38:39], v219 offset:352                // 000000006024: D9C40160 260000DB
	ds_read_b64_tr_b8 v[40:41], v219 offset:608                // 00000000602C: D9C40260 280000DB
	ds_read_b64_tr_b8 v[42:43], v219 offset:864                // 000000006034: D9C40360 2A0000DB
	s_waitcnt lgkmcnt(8)                                       // 00000000603C: BF8CC87F
	v_mfma_f32_32x32x64_f8f6f4 v[148:163], v[28:35], v[60:67], v[148:163]// 000000006040: D3AE0094 0652791C
	ds_read_b64_tr_b8 v[44:45], v219 offset:8416               // 000000006048: D9C420E0 2C0000DB
	ds_read_b64_tr_b8 v[46:47], v219 offset:8672               // 000000006050: D9C421E0 2E0000DB
	ds_read_b64_tr_b8 v[48:49], v219 offset:8928               // 000000006058: D9C422E0 300000DB
	ds_read_b64_tr_b8 v[50:51], v219 offset:9184               // 000000006060: D9C423E0 320000DB
	s_waitcnt lgkmcnt(8)                                       // 000000006068: BF8CC87F
	v_mfma_f32_32x32x64_f8f6f4 v[164:179], v[36:43], v[52:59], v[164:179]// 00000000606C: D3AE00A4 06926924
	ds_read_b128 v[20:23], v218 offset:16640                   // 000000006074: D9FE4100 140000DA
	ds_read_b128 v[24:27], v218 offset:16672                   // 00000000607C: D9FE4120 180000DA
	s_waitcnt lgkmcnt(6)                                       // 000000006084: BF8CC67F
	v_mfma_f32_32x32x64_f8f6f4 v[164:179], v[44:51], v[60:67], v[164:179]// 000000006088: D3AE00A4 0692792C
	ds_read_b128 v[28:31], v218 offset:20800                   // 000000006090: D9FE5140 1C0000DA
	ds_read_b128 v[32:35], v218 offset:20832                   // 000000006098: D9FE5160 200000DA
	s_addk_i32 s68, 0x80                                       // 0000000060A0: B7440080
	s_cmp_lt_i32 s68, s69                                      // 0000000060A4: BF044544
	s_cbranch_scc0 label_5754                                  // 0000000060A8: BF840CAA
	s_waitcnt lgkmcnt(2)                                       // 0000000060AC: BF8CC27F
	v_mfma_f32_32x32x64_f8f6f4 v[52:67], v[20:27], v[4:11], 0  // 0000000060B0: D3AE0034 02020914
	v_mul_i32_i24_dpp v184, v181, v223 quad_perm:[0,0,0,0] row_mask:0xf bank_mask:0xf// 0000000060B8: 0D71BEFA FF0000B5
	v_mul_i32_i24_dpp v185, v181, v223 quad_perm:[1,1,1,1] row_mask:0xf bank_mask:0xf// 0000000060C0: 0D73BEFA FF0055B5
	v_mul_i32_i24_dpp v186, v181, v223 quad_perm:[2,2,2,2] row_mask:0xf bank_mask:0xf// 0000000060C8: 0D75BEFA FF00AAB5
	v_mul_i32_i24_dpp v187, v181, v223 quad_perm:[3,3,3,3] row_mask:0xf bank_mask:0xf// 0000000060D0: 0D77BEFA FF00FFB5
	v_add_u32_e32 v214, v213, v184                             // 0000000060D8: 69AD71D5
	v_add_u32_e32 v215, v213, v185                             // 0000000060DC: 69AF73D5
	v_add_u32_e32 v216, v213, v186                             // 0000000060E0: 69B175D5
	v_add_u32_e32 v217, v213, v187                             // 0000000060E4: 69B377D5
	ds_read_b128 v[36:39], v218 offset:17152                   // 0000000060E8: D9FE4300 240000DA
	ds_read_b128 v[40:43], v218 offset:17184                   // 0000000060F0: D9FE4320 280000DA
	s_waitcnt lgkmcnt(2)                                       // 0000000060F8: BF8CC27F
	v_mfma_f32_32x32x64_f8f6f4 v[52:67], v[28:35], v[12:19], v[52:67]// 0000000060FC: D3AE0034 04D2191C
	s_add_u32 m0, s72, 0                                       // 000000006104: 807C8048
	buffer_load_dwordx4 v214, s[16:19], 0 offen lds            // 000000006108: E05D1000 800400D6
	ds_read_b128 v[44:47], v218 offset:21312                   // 000000006110: D9FE5340 2C0000DA
	ds_read_b128 v[48:51], v218 offset:21344                   // 000000006118: D9FE5360 300000DA
	s_waitcnt lgkmcnt(2)                                       // 000000006120: BF8CC27F
	v_mfma_f32_32x32x64_f8f6f4 v[68:83], v[36:43], v[4:11], 0  // 000000006124: D3AE0044 02020924
	s_add_u32 m0, s72, 0x410                                   // 00000000612C: 807CFF48 00000410
	buffer_load_dwordx4 v215, s[16:19], 0 offen lds            // 000000006134: E05D1000 800400D7
	ds_read_b128 v[20:23], v218 offset:24960                   // 00000000613C: D9FE6180 140000DA
	ds_read_b128 v[24:27], v218 offset:24992                   // 000000006144: D9FE61A0 180000DA
	s_waitcnt lgkmcnt(2)                                       // 00000000614C: BF8CC27F
	v_mfma_f32_32x32x64_f8f6f4 v[68:83], v[44:51], v[12:19], v[68:83]// 000000006150: D3AE0044 0512192C
	s_add_u32 m0, s72, 0x820                                   // 000000006158: 807CFF48 00000820
	buffer_load_dwordx4 v216, s[16:19], 0 offen lds            // 000000006160: E05D1000 800400D8
	ds_read_b128 v[28:31], v218 offset:29120                   // 000000006168: D9FE71C0 1C0000DA
	ds_read_b128 v[32:35], v218 offset:29152                   // 000000006170: D9FE71E0 200000DA
	s_waitcnt lgkmcnt(2)                                       // 000000006178: BF8CC27F
	v_mfma_f32_32x32x64_f8f6f4 v[84:99], v[20:27], v[4:11], 0  // 00000000617C: D3AE0054 02020914
	s_add_u32 m0, s72, 0xc30                                   // 000000006184: 807CFF48 00000C30
	buffer_load_dwordx4 v217, s[16:19], 0 offen lds            // 00000000618C: E05D1000 800400D9
	ds_read_b128 v[36:39], v218 offset:25472                   // 000000006194: D9FE6380 240000DA
	ds_read_b128 v[40:43], v218 offset:25504                   // 00000000619C: D9FE63A0 280000DA
	s_waitcnt lgkmcnt(2)                                       // 0000000061A4: BF8CC27F
	v_mfma_f32_32x32x64_f8f6f4 v[84:99], v[28:35], v[12:19], v[84:99]// 0000000061A8: D3AE0054 0552191C
	ds_read_b128 v[44:47], v218 offset:29632                   // 0000000061B0: D9FE73C0 2C0000DA
	ds_read_b128 v[48:51], v218 offset:29664                   // 0000000061B8: D9FE73E0 300000DA
	s_waitcnt lgkmcnt(2)                                       // 0000000061C0: BF8CC27F
	v_mfma_f32_32x32x64_f8f6f4 v[100:115], v[36:43], v[4:11], 0// 0000000061C4: D3AE0064 02020924
	ds_read_b64_tr_b8 v[20:21], v219 offset:16640              // 0000000061CC: D9C44100 140000DB
	ds_read_b64_tr_b8 v[22:23], v219 offset:16896              // 0000000061D4: D9C44200 160000DB
	ds_read_b64_tr_b8 v[24:25], v219 offset:17152              // 0000000061DC: D9C44300 180000DB
	ds_read_b64_tr_b8 v[26:27], v219 offset:17408              // 0000000061E4: D9C44400 1A0000DB
	s_waitcnt lgkmcnt(4)                                       // 0000000061EC: BF8CC47F
	v_mfma_f32_32x32x64_f8f6f4 v[100:115], v[44:51], v[12:19], v[100:115]// 0000000061F0: D3AE0064 0592192C
	ds_read_b64_tr_b8 v[28:29], v219 offset:24960              // 0000000061F8: D9C46180 1C0000DB
	ds_read_b64_tr_b8 v[30:31], v219 offset:25216              // 000000006200: D9C46280 1E0000DB
	ds_read_b64_tr_b8 v[32:33], v219 offset:25472              // 000000006208: D9C46380 200000DB
	ds_read_b64_tr_b8 v[34:35], v219 offset:25728              // 000000006210: D9C46480 220000DB
	s_nop 0                                                    // 000000006218: BF800000
	s_nop 4                                                    // 00000000621C: BF800004
	s_barrier                                                  // 000000006220: BF8A0000
	s_setprio 0                                                // 000000006224: BF8F0000
	s_barrier                                                  // 000000006228: BF8A0000
	v_mov_b32_e32 v193, v192                                   // 00000000622C: 7F8203C0
	v_max3_f32 v193, v52, v53, v193                            // 000000006230: D1D300C1 07066B34
	v_max3_f32 v193, v54, v55, v193                            // 000000006238: D1D300C1 07066F36
	v_max3_f32 v193, v56, v57, v193                            // 000000006240: D1D300C1 07067338
	v_max3_f32 v193, v58, v59, v193                            // 000000006248: D1D300C1 0706773A
	v_max3_f32 v193, v60, v61, v193                            // 000000006250: D1D300C1 07067B3C
	v_max3_f32 v193, v62, v63, v193                            // 000000006258: D1D300C1 07067F3E
	v_max3_f32 v193, v64, v65, v193                            // 000000006260: D1D300C1 07068340
	v_max3_f32 v193, v66, v67, v193                            // 000000006268: D1D300C1 07068742
	v_max3_f32 v193, v68, v69, v193                            // 000000006270: D1D300C1 07068B44
	v_max3_f32 v193, v70, v71, v193                            // 000000006278: D1D300C1 07068F46
	v_max3_f32 v193, v72, v73, v193                            // 000000006280: D1D300C1 07069348
	v_max3_f32 v193, v74, v75, v193                            // 000000006288: D1D300C1 0706974A
	v_max3_f32 v193, v76, v77, v193                            // 000000006290: D1D300C1 07069B4C
	v_max3_f32 v193, v78, v79, v193                            // 000000006298: D1D300C1 07069F4E
	v_max3_f32 v193, v80, v81, v193                            // 0000000062A0: D1D300C1 0706A350
	v_max3_f32 v193, v82, v83, v193                            // 0000000062A8: D1D300C1 0706A752
	v_max3_f32 v193, v84, v85, v193                            // 0000000062B0: D1D300C1 0706AB54
	v_max3_f32 v193, v86, v87, v193                            // 0000000062B8: D1D300C1 0706AF56
	v_max3_f32 v193, v88, v89, v193                            // 0000000062C0: D1D300C1 0706B358
	v_max3_f32 v193, v90, v91, v193                            // 0000000062C8: D1D300C1 0706B75A
	v_max3_f32 v193, v92, v93, v193                            // 0000000062D0: D1D300C1 0706BB5C
	v_max3_f32 v193, v94, v95, v193                            // 0000000062D8: D1D300C1 0706BF5E
	v_max3_f32 v193, v96, v97, v193                            // 0000000062E0: D1D300C1 0706C360
	v_max3_f32 v193, v98, v99, v193                            // 0000000062E8: D1D300C1 0706C762
	v_max3_f32 v193, v100, v101, v193                          // 0000000062F0: D1D300C1 0706CB64
	v_max3_f32 v193, v102, v103, v193                          // 0000000062F8: D1D300C1 0706CF66
	v_max3_f32 v193, v104, v105, v193                          // 000000006300: D1D300C1 0706D368
	v_max3_f32 v193, v106, v107, v193                          // 000000006308: D1D300C1 0706D76A
	v_max3_f32 v193, v108, v109, v193                          // 000000006310: D1D300C1 0706DB6C
	v_max3_f32 v193, v110, v111, v193                          // 000000006318: D1D300C1 0706DF6E
	v_max3_f32 v193, v112, v113, v193                          // 000000006320: D1D300C1 0706E370
	v_max3_f32 v193, v114, v115, v193                          // 000000006328: D1D300C1 0706E772
	v_mov_b32_e32 v184, v193                                   // 000000006330: 7F7003C1
	s_nop 1                                                    // 000000006334: BF800001
	s_nop 0                                                    // 000000006338: BF800000
	v_permlane32_swap_b32_e32 v184, v193                       // 00000000633C: 7F70B5C1
	v_max_f32_e32 v193, v193, v184                             // 000000006340: 178371C1
	v_cmp_eq_u32_e64 s[66:67], v197, v193                      // 000000006344: D0CA0042 000383C5
	s_nop 0                                                    // 00000000634C: BF800000
	v_cndmask_b32_e64 v193, v193, 0, s[66:67]                  // 000000006350: D10000C1 010901C1
	v_mul_f32_e64 v184, -s26, v193                             // 000000006358: D10500B8 2003821A
	v_mov_b32_e32 v185, v184                                   // 000000006360: 7F7203B8
	v_pk_fma_f32 v[52:53], v[52:53], s[26:27], v[184:185]      // 000000006364: D3B04034 1EE03534
	v_pk_fma_f32 v[54:55], v[54:55], s[26:27], v[184:185]      // 00000000636C: D3B04036 1EE03536
	v_pk_fma_f32 v[56:57], v[56:57], s[26:27], v[184:185]      // 000000006374: D3B04038 1EE03538
	v_pk_fma_f32 v[58:59], v[58:59], s[26:27], v[184:185]      // 00000000637C: D3B0403A 1EE0353A
	v_pk_fma_f32 v[60:61], v[60:61], s[26:27], v[184:185]      // 000000006384: D3B0403C 1EE0353C
	v_pk_fma_f32 v[62:63], v[62:63], s[26:27], v[184:185]      // 00000000638C: D3B0403E 1EE0353E
	v_pk_fma_f32 v[64:65], v[64:65], s[26:27], v[184:185]      // 000000006394: D3B04040 1EE03540
	v_pk_fma_f32 v[66:67], v[66:67], s[26:27], v[184:185]      // 00000000639C: D3B04042 1EE03542
	v_pk_fma_f32 v[68:69], v[68:69], s[26:27], v[184:185]      // 0000000063A4: D3B04044 1EE03544
	v_pk_fma_f32 v[70:71], v[70:71], s[26:27], v[184:185]      // 0000000063AC: D3B04046 1EE03546
	v_pk_fma_f32 v[72:73], v[72:73], s[26:27], v[184:185]      // 0000000063B4: D3B04048 1EE03548
	v_pk_fma_f32 v[74:75], v[74:75], s[26:27], v[184:185]      // 0000000063BC: D3B0404A 1EE0354A
	v_pk_fma_f32 v[76:77], v[76:77], s[26:27], v[184:185]      // 0000000063C4: D3B0404C 1EE0354C
	v_pk_fma_f32 v[78:79], v[78:79], s[26:27], v[184:185]      // 0000000063CC: D3B0404E 1EE0354E
	v_pk_fma_f32 v[80:81], v[80:81], s[26:27], v[184:185]      // 0000000063D4: D3B04050 1EE03550
	v_pk_fma_f32 v[82:83], v[82:83], s[26:27], v[184:185]      // 0000000063DC: D3B04052 1EE03552
	v_pk_fma_f32 v[84:85], v[84:85], s[26:27], v[184:185]      // 0000000063E4: D3B04054 1EE03554
	v_pk_fma_f32 v[86:87], v[86:87], s[26:27], v[184:185]      // 0000000063EC: D3B04056 1EE03556
	v_pk_fma_f32 v[88:89], v[88:89], s[26:27], v[184:185]      // 0000000063F4: D3B04058 1EE03558
	v_pk_fma_f32 v[90:91], v[90:91], s[26:27], v[184:185]      // 0000000063FC: D3B0405A 1EE0355A
	v_pk_fma_f32 v[92:93], v[92:93], s[26:27], v[184:185]      // 000000006404: D3B0405C 1EE0355C
	v_pk_fma_f32 v[94:95], v[94:95], s[26:27], v[184:185]      // 00000000640C: D3B0405E 1EE0355E
	v_pk_fma_f32 v[96:97], v[96:97], s[26:27], v[184:185]      // 000000006414: D3B04060 1EE03560
	v_pk_fma_f32 v[98:99], v[98:99], s[26:27], v[184:185]      // 00000000641C: D3B04062 1EE03562
	v_pk_fma_f32 v[100:101], v[100:101], s[26:27], v[184:185]  // 000000006424: D3B04064 1EE03564
	v_pk_fma_f32 v[102:103], v[102:103], s[26:27], v[184:185]  // 00000000642C: D3B04066 1EE03566
	v_pk_fma_f32 v[104:105], v[104:105], s[26:27], v[184:185]  // 000000006434: D3B04068 1EE03568
	v_pk_fma_f32 v[106:107], v[106:107], s[26:27], v[184:185]  // 00000000643C: D3B0406A 1EE0356A
	v_pk_fma_f32 v[108:109], v[108:109], s[26:27], v[184:185]  // 000000006444: D3B0406C 1EE0356C
	v_pk_fma_f32 v[110:111], v[110:111], s[26:27], v[184:185]  // 00000000644C: D3B0406E 1EE0356E
	v_pk_fma_f32 v[112:113], v[112:113], s[26:27], v[184:185]  // 000000006454: D3B04070 1EE03570
	v_pk_fma_f32 v[114:115], v[114:115], s[26:27], v[184:185]  // 00000000645C: D3B04072 1EE03572
	s_barrier                                                  // 000000006464: BF8A0000
	v_exp_f32_e32 v52, v52                                     // 000000006468: 7E684134
	v_exp_f32_e32 v53, v53                                     // 00000000646C: 7E6A4135
	v_exp_f32_e32 v54, v54                                     // 000000006470: 7E6C4136
	v_exp_f32_e32 v55, v55                                     // 000000006474: 7E6E4137
	v_exp_f32_e32 v56, v56                                     // 000000006478: 7E704138
	v_exp_f32_e32 v57, v57                                     // 00000000647C: 7E724139
	v_exp_f32_e32 v58, v58                                     // 000000006480: 7E74413A
	v_exp_f32_e32 v59, v59                                     // 000000006484: 7E76413B
	v_exp_f32_e32 v60, v60                                     // 000000006488: 7E78413C
	v_exp_f32_e32 v61, v61                                     // 00000000648C: 7E7A413D
	v_exp_f32_e32 v62, v62                                     // 000000006490: 7E7C413E
	v_exp_f32_e32 v63, v63                                     // 000000006494: 7E7E413F
	v_exp_f32_e32 v64, v64                                     // 000000006498: 7E804140
	v_exp_f32_e32 v65, v65                                     // 00000000649C: 7E824141
	v_exp_f32_e32 v66, v66                                     // 0000000064A0: 7E844142
	v_exp_f32_e32 v67, v67                                     // 0000000064A4: 7E864143
	v_exp_f32_e32 v68, v68                                     // 0000000064A8: 7E884144
	v_exp_f32_e32 v69, v69                                     // 0000000064AC: 7E8A4145
	v_exp_f32_e32 v70, v70                                     // 0000000064B0: 7E8C4146
	v_exp_f32_e32 v71, v71                                     // 0000000064B4: 7E8E4147
	v_exp_f32_e32 v72, v72                                     // 0000000064B8: 7E904148
	v_exp_f32_e32 v73, v73                                     // 0000000064BC: 7E924149
	v_exp_f32_e32 v74, v74                                     // 0000000064C0: 7E94414A
	v_exp_f32_e32 v75, v75                                     // 0000000064C4: 7E96414B
	v_exp_f32_e32 v76, v76                                     // 0000000064C8: 7E98414C
	v_exp_f32_e32 v77, v77                                     // 0000000064CC: 7E9A414D
	v_exp_f32_e32 v78, v78                                     // 0000000064D0: 7E9C414E
	v_exp_f32_e32 v79, v79                                     // 0000000064D4: 7E9E414F
	v_exp_f32_e32 v80, v80                                     // 0000000064D8: 7EA04150
	v_exp_f32_e32 v81, v81                                     // 0000000064DC: 7EA24151
	v_exp_f32_e32 v82, v82                                     // 0000000064E0: 7EA44152
	v_exp_f32_e32 v83, v83                                     // 0000000064E4: 7EA64153
	v_exp_f32_e32 v84, v84                                     // 0000000064E8: 7EA84154
	v_exp_f32_e32 v85, v85                                     // 0000000064EC: 7EAA4155
	v_exp_f32_e32 v86, v86                                     // 0000000064F0: 7EAC4156
	v_exp_f32_e32 v87, v87                                     // 0000000064F4: 7EAE4157
	v_exp_f32_e32 v88, v88                                     // 0000000064F8: 7EB04158
	v_exp_f32_e32 v89, v89                                     // 0000000064FC: 7EB24159
	v_exp_f32_e32 v90, v90                                     // 000000006500: 7EB4415A
	v_exp_f32_e32 v91, v91                                     // 000000006504: 7EB6415B
	v_exp_f32_e32 v92, v92                                     // 000000006508: 7EB8415C
	v_exp_f32_e32 v93, v93                                     // 00000000650C: 7EBA415D
	v_exp_f32_e32 v94, v94                                     // 000000006510: 7EBC415E
	v_exp_f32_e32 v95, v95                                     // 000000006514: 7EBE415F
	v_exp_f32_e32 v96, v96                                     // 000000006518: 7EC04160
	v_exp_f32_e32 v97, v97                                     // 00000000651C: 7EC24161
	v_exp_f32_e32 v98, v98                                     // 000000006520: 7EC44162
	v_exp_f32_e32 v99, v99                                     // 000000006524: 7EC64163
	v_exp_f32_e32 v100, v100                                   // 000000006528: 7EC84164
	v_exp_f32_e32 v101, v101                                   // 00000000652C: 7ECA4165
	v_exp_f32_e32 v102, v102                                   // 000000006530: 7ECC4166
	v_exp_f32_e32 v103, v103                                   // 000000006534: 7ECE4167
	v_exp_f32_e32 v104, v104                                   // 000000006538: 7ED04168
	v_exp_f32_e32 v105, v105                                   // 00000000653C: 7ED24169
	v_exp_f32_e32 v106, v106                                   // 000000006540: 7ED4416A
	v_exp_f32_e32 v107, v107                                   // 000000006544: 7ED6416B
	v_exp_f32_e32 v108, v108                                   // 000000006548: 7ED8416C
	v_exp_f32_e32 v109, v109                                   // 00000000654C: 7EDA416D
	v_exp_f32_e32 v110, v110                                   // 000000006550: 7EDC416E
	v_exp_f32_e32 v111, v111                                   // 000000006554: 7EDE416F
	v_exp_f32_e32 v112, v112                                   // 000000006558: 7EE04170
	v_exp_f32_e32 v113, v113                                   // 00000000655C: 7EE24171
	v_exp_f32_e32 v114, v114                                   // 000000006560: 7EE44172
	v_exp_f32_e32 v115, v115                                   // 000000006564: 7EE64173
	v_sub_f32_e32 v188, v192, v193                             // 000000006568: 057983C0
	v_cmp_eq_u32_e64 s[66:67], v197, v192                      // 00000000656C: D0CA0042 000381C5
	s_nop 0                                                    // 000000006574: BF800000
	v_cndmask_b32_e64 v188, v188, 0, s[66:67]                  // 000000006578: D10000BC 010901BC
	v_mov_b32_e32 v192, v193                                   // 000000006580: 7F8003C1
	v_mul_f32_e32 v188, s26, v188                              // 000000006584: 0B79781A
	v_exp_f32_e32 v188, v188                                   // 000000006588: 7F7841BC
	s_nop 0                                                    // 00000000658C: BF800000
	v_mul_f32_e32 v190, v188, v190                             // 000000006590: 0B7D7DBC
	v_add_f32_e32 v190, v52, v190                              // 000000006594: 037D7D34
	v_add_f32_e32 v190, v53, v190                              // 000000006598: 037D7D35
	v_add_f32_e32 v190, v54, v190                              // 00000000659C: 037D7D36
	v_add_f32_e32 v190, v55, v190                              // 0000000065A0: 037D7D37
	v_add_f32_e32 v190, v56, v190                              // 0000000065A4: 037D7D38
	v_add_f32_e32 v190, v57, v190                              // 0000000065A8: 037D7D39
	v_add_f32_e32 v190, v58, v190                              // 0000000065AC: 037D7D3A
	v_add_f32_e32 v190, v59, v190                              // 0000000065B0: 037D7D3B
	v_add_f32_e32 v190, v60, v190                              // 0000000065B4: 037D7D3C
	v_add_f32_e32 v190, v61, v190                              // 0000000065B8: 037D7D3D
	v_add_f32_e32 v190, v62, v190                              // 0000000065BC: 037D7D3E
	v_add_f32_e32 v190, v63, v190                              // 0000000065C0: 037D7D3F
	v_add_f32_e32 v190, v64, v190                              // 0000000065C4: 037D7D40
	v_add_f32_e32 v190, v65, v190                              // 0000000065C8: 037D7D41
	v_add_f32_e32 v190, v66, v190                              // 0000000065CC: 037D7D42
	v_add_f32_e32 v190, v67, v190                              // 0000000065D0: 037D7D43
	v_add_f32_e32 v190, v68, v190                              // 0000000065D4: 037D7D44
	v_add_f32_e32 v190, v69, v190                              // 0000000065D8: 037D7D45
	v_add_f32_e32 v190, v70, v190                              // 0000000065DC: 037D7D46
	v_add_f32_e32 v190, v71, v190                              // 0000000065E0: 037D7D47
	v_add_f32_e32 v190, v72, v190                              // 0000000065E4: 037D7D48
	v_add_f32_e32 v190, v73, v190                              // 0000000065E8: 037D7D49
	v_add_f32_e32 v190, v74, v190                              // 0000000065EC: 037D7D4A
	v_add_f32_e32 v190, v75, v190                              // 0000000065F0: 037D7D4B
	v_add_f32_e32 v190, v76, v190                              // 0000000065F4: 037D7D4C
	v_add_f32_e32 v190, v77, v190                              // 0000000065F8: 037D7D4D
	v_add_f32_e32 v190, v78, v190                              // 0000000065FC: 037D7D4E
	v_add_f32_e32 v190, v79, v190                              // 000000006600: 037D7D4F
	v_add_f32_e32 v190, v80, v190                              // 000000006604: 037D7D50
	v_add_f32_e32 v190, v81, v190                              // 000000006608: 037D7D51
	v_add_f32_e32 v190, v82, v190                              // 00000000660C: 037D7D52
	v_add_f32_e32 v190, v83, v190                              // 000000006610: 037D7D53
	v_add_f32_e32 v190, v84, v190                              // 000000006614: 037D7D54
	v_add_f32_e32 v190, v85, v190                              // 000000006618: 037D7D55
	v_add_f32_e32 v190, v86, v190                              // 00000000661C: 037D7D56
	v_add_f32_e32 v190, v87, v190                              // 000000006620: 037D7D57
	v_add_f32_e32 v190, v88, v190                              // 000000006624: 037D7D58
	v_add_f32_e32 v190, v89, v190                              // 000000006628: 037D7D59
	v_add_f32_e32 v190, v90, v190                              // 00000000662C: 037D7D5A
	v_add_f32_e32 v190, v91, v190                              // 000000006630: 037D7D5B
	v_add_f32_e32 v190, v92, v190                              // 000000006634: 037D7D5C
	v_add_f32_e32 v190, v93, v190                              // 000000006638: 037D7D5D
	v_add_f32_e32 v190, v94, v190                              // 00000000663C: 037D7D5E
	v_add_f32_e32 v190, v95, v190                              // 000000006640: 037D7D5F
	v_add_f32_e32 v190, v96, v190                              // 000000006644: 037D7D60
	v_add_f32_e32 v190, v97, v190                              // 000000006648: 037D7D61
	v_add_f32_e32 v190, v98, v190                              // 00000000664C: 037D7D62
	v_add_f32_e32 v190, v99, v190                              // 000000006650: 037D7D63
	v_add_f32_e32 v190, v100, v190                             // 000000006654: 037D7D64
	v_add_f32_e32 v190, v101, v190                             // 000000006658: 037D7D65
	v_add_f32_e32 v190, v102, v190                             // 00000000665C: 037D7D66
	v_add_f32_e32 v190, v103, v190                             // 000000006660: 037D7D67
	v_add_f32_e32 v190, v104, v190                             // 000000006664: 037D7D68
	v_add_f32_e32 v190, v105, v190                             // 000000006668: 037D7D69
	v_add_f32_e32 v190, v106, v190                             // 00000000666C: 037D7D6A
	v_add_f32_e32 v190, v107, v190                             // 000000006670: 037D7D6B
	v_add_f32_e32 v190, v108, v190                             // 000000006674: 037D7D6C
	v_add_f32_e32 v190, v109, v190                             // 000000006678: 037D7D6D
	v_add_f32_e32 v190, v110, v190                             // 00000000667C: 037D7D6E
	v_add_f32_e32 v190, v111, v190                             // 000000006680: 037D7D6F
	v_add_f32_e32 v190, v112, v190                             // 000000006684: 037D7D70
	v_add_f32_e32 v190, v113, v190                             // 000000006688: 037D7D71
	v_add_f32_e32 v190, v114, v190                             // 00000000668C: 037D7D72
	v_add_f32_e32 v190, v115, v190                             // 000000006690: 037D7D73
	v_mul_f32_e32 v116, v188, v116                             // 000000006694: 0AE8E9BC
	v_mul_f32_e32 v117, v188, v117                             // 000000006698: 0AEAEBBC
	v_mul_f32_e32 v118, v188, v118                             // 00000000669C: 0AECEDBC
	v_mul_f32_e32 v119, v188, v119                             // 0000000066A0: 0AEEEFBC
	v_mul_f32_e32 v120, v188, v120                             // 0000000066A4: 0AF0F1BC
	v_mul_f32_e32 v121, v188, v121                             // 0000000066A8: 0AF2F3BC
	v_mul_f32_e32 v122, v188, v122                             // 0000000066AC: 0AF4F5BC
	v_mul_f32_e32 v123, v188, v123                             // 0000000066B0: 0AF6F7BC
	v_mul_f32_e32 v124, v188, v124                             // 0000000066B4: 0AF8F9BC
	v_mul_f32_e32 v125, v188, v125                             // 0000000066B8: 0AFAFBBC
	v_mul_f32_e32 v126, v188, v126                             // 0000000066BC: 0AFCFDBC
	v_mul_f32_e32 v127, v188, v127                             // 0000000066C0: 0AFEFFBC
	v_mul_f32_e32 v128, v188, v128                             // 0000000066C4: 0B0101BC
	v_mul_f32_e32 v129, v188, v129                             // 0000000066C8: 0B0303BC
	v_mul_f32_e32 v130, v188, v130                             // 0000000066CC: 0B0505BC
	v_mul_f32_e32 v131, v188, v131                             // 0000000066D0: 0B0707BC
	v_mul_f32_e32 v132, v188, v132                             // 0000000066D4: 0B0909BC
	v_mul_f32_e32 v133, v188, v133                             // 0000000066D8: 0B0B0BBC
	v_mul_f32_e32 v134, v188, v134                             // 0000000066DC: 0B0D0DBC
	v_mul_f32_e32 v135, v188, v135                             // 0000000066E0: 0B0F0FBC
	v_mul_f32_e32 v136, v188, v136                             // 0000000066E4: 0B1111BC
	v_mul_f32_e32 v137, v188, v137                             // 0000000066E8: 0B1313BC
	v_mul_f32_e32 v138, v188, v138                             // 0000000066EC: 0B1515BC
	v_mul_f32_e32 v139, v188, v139                             // 0000000066F0: 0B1717BC
	v_mul_f32_e32 v140, v188, v140                             // 0000000066F4: 0B1919BC
	s_waitcnt vmcnt(0)                                         // 0000000066F8: BF8C0F70
	s_barrier                                                  // 0000000066FC: BF8A0000
	v_mul_f32_e32 v141, v188, v141                             // 000000006700: 0B1B1BBC
	v_mul_f32_e32 v142, v188, v142                             // 000000006704: 0B1D1DBC
	v_mul_f32_e32 v143, v188, v143                             // 000000006708: 0B1F1FBC
	v_mul_f32_e32 v144, v188, v144                             // 00000000670C: 0B2121BC
	v_mul_f32_e32 v145, v188, v145                             // 000000006710: 0B2323BC
	v_mul_f32_e32 v146, v188, v146                             // 000000006714: 0B2525BC
	v_mul_f32_e32 v147, v188, v147                             // 000000006718: 0B2727BC
	v_mul_f32_e32 v148, v188, v148                             // 00000000671C: 0B2929BC
	v_mul_f32_e32 v149, v188, v149                             // 000000006720: 0B2B2BBC
	v_mul_f32_e32 v150, v188, v150                             // 000000006724: 0B2D2DBC
	v_mul_f32_e32 v151, v188, v151                             // 000000006728: 0B2F2FBC
	v_mul_f32_e32 v152, v188, v152                             // 00000000672C: 0B3131BC
	v_mul_f32_e32 v153, v188, v153                             // 000000006730: 0B3333BC
	v_mul_f32_e32 v154, v188, v154                             // 000000006734: 0B3535BC
	v_mul_f32_e32 v155, v188, v155                             // 000000006738: 0B3737BC
	v_mul_f32_e32 v156, v188, v156                             // 00000000673C: 0B3939BC
	v_mul_f32_e32 v157, v188, v157                             // 000000006740: 0B3B3BBC
	v_mul_f32_e32 v158, v188, v158                             // 000000006744: 0B3D3DBC
	v_mul_f32_e32 v159, v188, v159                             // 000000006748: 0B3F3FBC
	v_mul_f32_e32 v160, v188, v160                             // 00000000674C: 0B4141BC
	v_mul_f32_e32 v161, v188, v161                             // 000000006750: 0B4343BC
	v_mul_f32_e32 v162, v188, v162                             // 000000006754: 0B4545BC
	v_mul_f32_e32 v163, v188, v163                             // 000000006758: 0B4747BC
	v_mul_f32_e32 v164, v188, v164                             // 00000000675C: 0B4949BC
	v_mul_f32_e32 v165, v188, v165                             // 000000006760: 0B4B4BBC
	v_mul_f32_e32 v166, v188, v166                             // 000000006764: 0B4D4DBC
	v_mul_f32_e32 v167, v188, v167                             // 000000006768: 0B4F4FBC
	v_mul_f32_e32 v168, v188, v168                             // 00000000676C: 0B5151BC
	v_mul_f32_e32 v169, v188, v169                             // 000000006770: 0B5353BC
	v_mul_f32_e32 v170, v188, v170                             // 000000006774: 0B5555BC
	v_mul_f32_e32 v171, v188, v171                             // 000000006778: 0B5757BC
	v_mul_f32_e32 v172, v188, v172                             // 00000000677C: 0B5959BC
	v_mul_f32_e32 v173, v188, v173                             // 000000006780: 0B5B5BBC
	v_mul_f32_e32 v174, v188, v174                             // 000000006784: 0B5D5DBC
	v_mul_f32_e32 v175, v188, v175                             // 000000006788: 0B5F5FBC
	v_mul_f32_e32 v176, v188, v176                             // 00000000678C: 0B6161BC
	v_mul_f32_e32 v177, v188, v177                             // 000000006790: 0B6363BC
	v_mul_f32_e32 v178, v188, v178                             // 000000006794: 0B6565BC
	v_mul_f32_e32 v179, v188, v179                             // 000000006798: 0B6767BC
	s_barrier                                                  // 00000000679C: BF8A0000
	v_cvt_pk_fp8_f32 v52, v52, v53                             // 0000000067A0: D2A20034 00026B34
	v_cvt_pk_fp8_f32 v52, v54, v55 op_sel:[0,0,1]              // 0000000067A8: D2A24034 00026F36
	v_cvt_pk_fp8_f32 v53, v56, v57                             // 0000000067B0: D2A20035 00027338
	v_cvt_pk_fp8_f32 v53, v58, v59 op_sel:[0,0,1]              // 0000000067B8: D2A24035 0002773A
	v_cvt_pk_fp8_f32 v54, v60, v61                             // 0000000067C0: D2A20036 00027B3C
	v_cvt_pk_fp8_f32 v54, v62, v63 op_sel:[0,0,1]              // 0000000067C8: D2A24036 00027F3E
	v_cvt_pk_fp8_f32 v55, v64, v65                             // 0000000067D0: D2A20037 00028340
	v_cvt_pk_fp8_f32 v55, v66, v67 op_sel:[0,0,1]              // 0000000067D8: D2A24037 00028742
	v_cvt_pk_fp8_f32 v56, v68, v69                             // 0000000067E0: D2A20038 00028B44
	v_cvt_pk_fp8_f32 v56, v70, v71 op_sel:[0,0,1]              // 0000000067E8: D2A24038 00028F46
	v_cvt_pk_fp8_f32 v57, v72, v73                             // 0000000067F0: D2A20039 00029348
	v_cvt_pk_fp8_f32 v57, v74, v75 op_sel:[0,0,1]              // 0000000067F8: D2A24039 0002974A
	v_cvt_pk_fp8_f32 v58, v76, v77                             // 000000006800: D2A2003A 00029B4C
	v_cvt_pk_fp8_f32 v58, v78, v79 op_sel:[0,0,1]              // 000000006808: D2A2403A 00029F4E
	v_cvt_pk_fp8_f32 v59, v80, v81                             // 000000006810: D2A2003B 0002A350
	v_cvt_pk_fp8_f32 v59, v82, v83 op_sel:[0,0,1]              // 000000006818: D2A2403B 0002A752
	v_cvt_pk_fp8_f32 v60, v84, v85                             // 000000006820: D2A2003C 0002AB54
	v_cvt_pk_fp8_f32 v60, v86, v87 op_sel:[0,0,1]              // 000000006828: D2A2403C 0002AF56
	v_cvt_pk_fp8_f32 v61, v88, v89                             // 000000006830: D2A2003D 0002B358
	v_cvt_pk_fp8_f32 v61, v90, v91 op_sel:[0,0,1]              // 000000006838: D2A2403D 0002B75A
	v_cvt_pk_fp8_f32 v62, v92, v93                             // 000000006840: D2A2003E 0002BB5C
	v_cvt_pk_fp8_f32 v62, v94, v95 op_sel:[0,0,1]              // 000000006848: D2A2403E 0002BF5E
	v_cvt_pk_fp8_f32 v63, v96, v97                             // 000000006850: D2A2003F 0002C360
	v_cvt_pk_fp8_f32 v63, v98, v99 op_sel:[0,0,1]              // 000000006858: D2A2403F 0002C762
	v_cvt_pk_fp8_f32 v64, v100, v101                           // 000000006860: D2A20040 0002CB64
	v_cvt_pk_fp8_f32 v64, v102, v103 op_sel:[0,0,1]            // 000000006868: D2A24040 0002CF66
	v_cvt_pk_fp8_f32 v65, v104, v105                           // 000000006870: D2A20041 0002D368
	v_cvt_pk_fp8_f32 v65, v106, v107 op_sel:[0,0,1]            // 000000006878: D2A24041 0002D76A
	v_cvt_pk_fp8_f32 v66, v108, v109                           // 000000006880: D2A20042 0002DB6C
	v_cvt_pk_fp8_f32 v66, v110, v111 op_sel:[0,0,1]            // 000000006888: D2A24042 0002DF6E
	v_cvt_pk_fp8_f32 v67, v112, v113                           // 000000006890: D2A20043 0002E370
	v_cvt_pk_fp8_f32 v67, v114, v115 op_sel:[0,0,1]            // 000000006898: D2A24043 0002E772
	s_barrier                                                  // 0000000068A0: BF8A0000
	s_waitcnt lgkmcnt(8)                                       // 0000000068A4: BF8CC87F
	s_setprio 1                                                // 0000000068A8: BF8F0001
	s_barrier                                                  // 0000000068AC: BF8A0000
	v_mfma_f32_32x32x64_f8f6f4 v[116:131], v[20:27], v[52:59], v[116:131]// 0000000068B0: D3AE0074 05D26914
	ds_read_b64_tr_b8 v[36:37], v219 offset:16672              // 0000000068B8: D9C44120 240000DB
	ds_read_b64_tr_b8 v[38:39], v219 offset:16928              // 0000000068C0: D9C44220 260000DB
	ds_read_b64_tr_b8 v[40:41], v219 offset:17184              // 0000000068C8: D9C44320 280000DB
	ds_read_b64_tr_b8 v[42:43], v219 offset:17440              // 0000000068D0: D9C44420 2A0000DB
	s_waitcnt lgkmcnt(8)                                       // 0000000068D8: BF8CC87F
	v_mfma_f32_32x32x64_f8f6f4 v[116:131], v[28:35], v[60:67], v[116:131]// 0000000068DC: D3AE0074 05D2791C
	ds_read_b64_tr_b8 v[44:45], v219 offset:24992              // 0000000068E4: D9C461A0 2C0000DB
	ds_read_b64_tr_b8 v[46:47], v219 offset:25248              // 0000000068EC: D9C462A0 2E0000DB
	ds_read_b64_tr_b8 v[48:49], v219 offset:25504              // 0000000068F4: D9C463A0 300000DB
	ds_read_b64_tr_b8 v[50:51], v219 offset:25760              // 0000000068FC: D9C464A0 320000DB
	s_waitcnt lgkmcnt(8)                                       // 000000006904: BF8CC87F
	v_mfma_f32_32x32x64_f8f6f4 v[132:147], v[36:43], v[52:59], v[132:147]// 000000006908: D3AE0084 06126924
	ds_read_b64_tr_b8 v[20:21], v219 offset:16704              // 000000006910: D9C44140 140000DB
	ds_read_b64_tr_b8 v[22:23], v219 offset:16960              // 000000006918: D9C44240 160000DB
	ds_read_b64_tr_b8 v[24:25], v219 offset:17216              // 000000006920: D9C44340 180000DB
	ds_read_b64_tr_b8 v[26:27], v219 offset:17472              // 000000006928: D9C44440 1A0000DB
	s_waitcnt lgkmcnt(8)                                       // 000000006930: BF8CC87F
	v_mfma_f32_32x32x64_f8f6f4 v[132:147], v[44:51], v[60:67], v[132:147]// 000000006934: D3AE0084 0612792C
	ds_read_b64_tr_b8 v[28:29], v219 offset:25024              // 00000000693C: D9C461C0 1C0000DB
	ds_read_b64_tr_b8 v[30:31], v219 offset:25280              // 000000006944: D9C462C0 1E0000DB
	ds_read_b64_tr_b8 v[32:33], v219 offset:25536              // 00000000694C: D9C463C0 200000DB
	ds_read_b64_tr_b8 v[34:35], v219 offset:25792              // 000000006954: D9C464C0 220000DB
	s_waitcnt lgkmcnt(8)                                       // 00000000695C: BF8CC87F
	v_mfma_f32_32x32x64_f8f6f4 v[148:163], v[20:27], v[52:59], v[148:163]// 000000006960: D3AE0094 06526914
	ds_read_b64_tr_b8 v[36:37], v219 offset:16736              // 000000006968: D9C44160 240000DB
	ds_read_b64_tr_b8 v[38:39], v219 offset:16992              // 000000006970: D9C44260 260000DB
	ds_read_b64_tr_b8 v[40:41], v219 offset:17248              // 000000006978: D9C44360 280000DB
	ds_read_b64_tr_b8 v[42:43], v219 offset:17504              // 000000006980: D9C44460 2A0000DB
	s_waitcnt lgkmcnt(8)                                       // 000000006988: BF8CC87F
	v_mfma_f32_32x32x64_f8f6f4 v[148:163], v[28:35], v[60:67], v[148:163]// 00000000698C: D3AE0094 0652791C
	ds_read_b64_tr_b8 v[44:45], v219 offset:25056              // 000000006994: D9C461E0 2C0000DB
	ds_read_b64_tr_b8 v[46:47], v219 offset:25312              // 00000000699C: D9C462E0 2E0000DB
	ds_read_b64_tr_b8 v[48:49], v219 offset:25568              // 0000000069A4: D9C463E0 300000DB
	ds_read_b64_tr_b8 v[50:51], v219 offset:25824              // 0000000069AC: D9C464E0 320000DB
	s_waitcnt lgkmcnt(8)                                       // 0000000069B4: BF8CC87F
	v_mfma_f32_32x32x64_f8f6f4 v[164:179], v[36:43], v[52:59], v[164:179]// 0000000069B8: D3AE00A4 06926924
	ds_read_b128 v[20:23], v218                                // 0000000069C0: D9FE0000 140000DA
	ds_read_b128 v[24:27], v218 offset:32                      // 0000000069C8: D9FE0020 180000DA
	s_waitcnt lgkmcnt(6)                                       // 0000000069D0: BF8CC67F
	v_mfma_f32_32x32x64_f8f6f4 v[164:179], v[44:51], v[60:67], v[164:179]// 0000000069D4: D3AE00A4 0692792C
	ds_read_b128 v[28:31], v218 offset:4160                    // 0000000069DC: D9FE1040 1C0000DA
	ds_read_b128 v[32:35], v218 offset:4192                    // 0000000069E4: D9FE1060 200000DA
	s_addk_i32 s68, 0x80                                       // 0000000069EC: B7440080
	s_branch label_1B40                                        // 0000000069F0: BF82FB53

00000000000069f4 <label_2DF4>:
	s_cmp_lt_i32 s68, s43                                      // 0000000069F4: BF042B44
	s_cbranch_scc0 label_6524                                  // 0000000069F8: BF840DCA
	s_waitcnt lgkmcnt(2)                                       // 0000000069FC: BF8CC27F
	v_mfma_f32_32x32x64_f8f6f4 v[52:67], v[20:27], v[4:11], 0  // 000000006A00: D3AE0034 02020914
	v_mul_i32_i24_dpp v184, v180, v222 quad_perm:[2,2,2,2] row_mask:0xf bank_mask:0xf// 000000006A08: 0D71BCFA FF00AAB4
	v_mul_i32_i24_dpp v185, v180, v222 quad_perm:[3,3,3,3] row_mask:0xf bank_mask:0xf// 000000006A10: 0D73BCFA FF00FFB4
	v_add_u32_e32 v211, v210, v184                             // 000000006A18: 69A771D2
	v_add_u32_e32 v212, v210, v185                             // 000000006A1C: 69A973D2
	ds_read_b128 v[36:39], v218 offset:512                     // 000000006A20: D9FE0200 240000DA
	ds_read_b128 v[40:43], v218 offset:544                     // 000000006A28: D9FE0220 280000DA
	s_waitcnt lgkmcnt(2)                                       // 000000006A30: BF8CC27F
	v_mfma_f32_32x32x64_f8f6f4 v[52:67], v[28:35], v[12:19], v[52:67]// 000000006A34: D3AE0034 04D2191C
	s_add_u32 m0, s71, 0x4100                                  // 000000006A3C: 807CFF47 00004100
	buffer_load_dwordx4 v211, s[12:15], 0 offen lds            // 000000006A44: E05D1000 800300D3
	ds_read_b128 v[44:47], v218 offset:4672                    // 000000006A4C: D9FE1240 2C0000DA
	ds_read_b128 v[48:51], v218 offset:4704                    // 000000006A54: D9FE1260 300000DA
	s_waitcnt lgkmcnt(2)                                       // 000000006A5C: BF8CC27F
	v_mfma_f32_32x32x64_f8f6f4 v[68:83], v[36:43], v[4:11], 0  // 000000006A60: D3AE0044 02020924
	s_add_u32 m0, s71, 0x4510                                  // 000000006A68: 807CFF47 00004510
	buffer_load_dwordx4 v212, s[12:15], 0 offen lds            // 000000006A70: E05D1000 800300D4
	ds_read_b128 v[20:23], v218 offset:8320                    // 000000006A78: D9FE2080 140000DA
	ds_read_b128 v[24:27], v218 offset:8352                    // 000000006A80: D9FE20A0 180000DA
	s_waitcnt lgkmcnt(2)                                       // 000000006A88: BF8CC27F
	v_mfma_f32_32x32x64_f8f6f4 v[68:83], v[44:51], v[12:19], v[68:83]// 000000006A8C: D3AE0044 0512192C
	s_add_u32 m0, s71, 0x5100                                  // 000000006A94: 807CFF47 00005100
	buffer_load_dwordx4 v211, s[12:15], 0 offen offset:64 lds  // 000000006A9C: E05D1040 800300D3
	ds_read_b128 v[28:31], v218 offset:12480                   // 000000006AA4: D9FE30C0 1C0000DA
	ds_read_b128 v[32:35], v218 offset:12512                   // 000000006AAC: D9FE30E0 200000DA
	s_waitcnt lgkmcnt(2)                                       // 000000006AB4: BF8CC27F
	v_mfma_f32_32x32x64_f8f6f4 v[84:99], v[20:27], v[4:11], 0  // 000000006AB8: D3AE0054 02020914
	s_add_u32 m0, s71, 0x5510                                  // 000000006AC0: 807CFF47 00005510
	buffer_load_dwordx4 v212, s[12:15], 0 offen offset:64 lds  // 000000006AC8: E05D1040 800300D4
	ds_read_b128 v[36:39], v218 offset:8832                    // 000000006AD0: D9FE2280 240000DA
	ds_read_b128 v[40:43], v218 offset:8864                    // 000000006AD8: D9FE22A0 280000DA
	s_waitcnt lgkmcnt(2)                                       // 000000006AE0: BF8CC27F
	v_mfma_f32_32x32x64_f8f6f4 v[84:99], v[28:35], v[12:19], v[84:99]// 000000006AE4: D3AE0054 0552191C
	v_lshrrev_b32_e32 v180, 2, v207                            // 000000006AEC: 21699E82
	v_add_u32_e32 v207, 0x400, v207                            // 000000006AF0: 699F9EFF 00000400
	ds_read_b128 v[44:47], v218 offset:12992                   // 000000006AF8: D9FE32C0 2C0000DA
	ds_read_b128 v[48:51], v218 offset:13024                   // 000000006B00: D9FE32E0 300000DA
	s_waitcnt lgkmcnt(2)                                       // 000000006B08: BF8CC27F
	v_mfma_f32_32x32x64_f8f6f4 v[100:115], v[36:43], v[4:11], 0// 000000006B0C: D3AE0064 02020924
	s_barrier                                                  // 000000006B14: BF8A0000
	ds_read_b64_tr_b8 v[20:21], v219                           // 000000006B18: D9C40000 140000DB
	ds_read_b64_tr_b8 v[22:23], v219 offset:256                // 000000006B20: D9C40100 160000DB
	ds_read_b64_tr_b8 v[24:25], v219 offset:512                // 000000006B28: D9C40200 180000DB
	ds_read_b64_tr_b8 v[26:27], v219 offset:768                // 000000006B30: D9C40300 1A0000DB
	s_waitcnt lgkmcnt(4)                                       // 000000006B38: BF8CC47F
	v_mfma_f32_32x32x64_f8f6f4 v[100:115], v[44:51], v[12:19], v[100:115]// 000000006B3C: D3AE0064 0592192C
	ds_read_b64_tr_b8 v[28:29], v219 offset:8320               // 000000006B44: D9C42080 1C0000DB
	ds_read_b64_tr_b8 v[30:31], v219 offset:8576               // 000000006B4C: D9C42180 1E0000DB
	ds_read_b64_tr_b8 v[32:33], v219 offset:8832               // 000000006B54: D9C42280 200000DB
	ds_read_b64_tr_b8 v[34:35], v219 offset:9088               // 000000006B5C: D9C42380 220000DB
	s_nop 5                                                    // 000000006B64: BF800005
	s_barrier                                                  // 000000006B68: BF8A0000
	s_setprio 0                                                // 000000006B6C: BF8F0000
	s_barrier                                                  // 000000006B70: BF8A0000
	v_add_u32_e32 v184, s68, v195                              // 000000006B74: 69718644
	v_add_u32_e32 v185, 0, v184                                // 000000006B78: 69737080
	v_cmp_lt_i32_e32 vcc, v185, v194                           // 000000006B7C: 7D8385B9
	s_nop 0                                                    // 000000006B80: BF800000
	v_cndmask_b32_e32 v52, v197, v52, vcc                      // 000000006B84: 006869C5
	v_add_u32_e32 v185, 1, v184                                // 000000006B88: 69737081
	v_cmp_lt_i32_e32 vcc, v185, v194                           // 000000006B8C: 7D8385B9
	s_nop 0                                                    // 000000006B90: BF800000
	v_cndmask_b32_e32 v53, v197, v53, vcc                      // 000000006B94: 006A6BC5
	v_add_u32_e32 v185, 2, v184                                // 000000006B98: 69737082
	v_cmp_lt_i32_e32 vcc, v185, v194                           // 000000006B9C: 7D8385B9
	s_nop 0                                                    // 000000006BA0: BF800000
	v_cndmask_b32_e32 v54, v197, v54, vcc                      // 000000006BA4: 006C6DC5
	v_add_u32_e32 v185, 3, v184                                // 000000006BA8: 69737083
	v_cmp_lt_i32_e32 vcc, v185, v194                           // 000000006BAC: 7D8385B9
	s_nop 0                                                    // 000000006BB0: BF800000
	v_cndmask_b32_e32 v55, v197, v55, vcc                      // 000000006BB4: 006E6FC5
	v_add_u32_e32 v185, 8, v184                                // 000000006BB8: 69737088
	v_cmp_lt_i32_e32 vcc, v185, v194                           // 000000006BBC: 7D8385B9
	s_nop 0                                                    // 000000006BC0: BF800000
	v_cndmask_b32_e32 v56, v197, v56, vcc                      // 000000006BC4: 007071C5
	v_add_u32_e32 v185, 9, v184                                // 000000006BC8: 69737089
	v_cmp_lt_i32_e32 vcc, v185, v194                           // 000000006BCC: 7D8385B9
	s_nop 0                                                    // 000000006BD0: BF800000
	v_cndmask_b32_e32 v57, v197, v57, vcc                      // 000000006BD4: 007273C5
	v_add_u32_e32 v185, 10, v184                               // 000000006BD8: 6973708A
	v_cmp_lt_i32_e32 vcc, v185, v194                           // 000000006BDC: 7D8385B9
	s_nop 0                                                    // 000000006BE0: BF800000
	v_cndmask_b32_e32 v58, v197, v58, vcc                      // 000000006BE4: 007475C5
	v_add_u32_e32 v185, 11, v184                               // 000000006BE8: 6973708B
	v_cmp_lt_i32_e32 vcc, v185, v194                           // 000000006BEC: 7D8385B9
	s_nop 0                                                    // 000000006BF0: BF800000
	v_cndmask_b32_e32 v59, v197, v59, vcc                      // 000000006BF4: 007677C5
	v_add_u32_e32 v185, 16, v184                               // 000000006BF8: 69737090
	v_cmp_lt_i32_e32 vcc, v185, v194                           // 000000006BFC: 7D8385B9
	s_nop 0                                                    // 000000006C00: BF800000
	v_cndmask_b32_e32 v60, v197, v60, vcc                      // 000000006C04: 007879C5
	v_add_u32_e32 v185, 17, v184                               // 000000006C08: 69737091
	v_cmp_lt_i32_e32 vcc, v185, v194                           // 000000006C0C: 7D8385B9
	s_nop 0                                                    // 000000006C10: BF800000
	v_cndmask_b32_e32 v61, v197, v61, vcc                      // 000000006C14: 007A7BC5
	v_add_u32_e32 v185, 18, v184                               // 000000006C18: 69737092
	v_cmp_lt_i32_e32 vcc, v185, v194                           // 000000006C1C: 7D8385B9
	s_nop 0                                                    // 000000006C20: BF800000
	v_cndmask_b32_e32 v62, v197, v62, vcc                      // 000000006C24: 007C7DC5
	v_add_u32_e32 v185, 19, v184                               // 000000006C28: 69737093
	v_cmp_lt_i32_e32 vcc, v185, v194                           // 000000006C2C: 7D8385B9
	s_nop 0                                                    // 000000006C30: BF800000
	v_cndmask_b32_e32 v63, v197, v63, vcc                      // 000000006C34: 007E7FC5
	v_add_u32_e32 v185, 24, v184                               // 000000006C38: 69737098
	v_cmp_lt_i32_e32 vcc, v185, v194                           // 000000006C3C: 7D8385B9
	s_nop 0                                                    // 000000006C40: BF800000
	v_cndmask_b32_e32 v64, v197, v64, vcc                      // 000000006C44: 008081C5
	v_add_u32_e32 v185, 25, v184                               // 000000006C48: 69737099
	v_cmp_lt_i32_e32 vcc, v185, v194                           // 000000006C4C: 7D8385B9
	s_nop 0                                                    // 000000006C50: BF800000
	v_cndmask_b32_e32 v65, v197, v65, vcc                      // 000000006C54: 008283C5
	v_add_u32_e32 v185, 26, v184                               // 000000006C58: 6973709A
	v_cmp_lt_i32_e32 vcc, v185, v194                           // 000000006C5C: 7D8385B9
	s_nop 0                                                    // 000000006C60: BF800000
	v_cndmask_b32_e32 v66, v197, v66, vcc                      // 000000006C64: 008485C5
	v_add_u32_e32 v185, 27, v184                               // 000000006C68: 6973709B
	v_cmp_lt_i32_e32 vcc, v185, v194                           // 000000006C6C: 7D8385B9
	s_nop 0                                                    // 000000006C70: BF800000
	v_cndmask_b32_e32 v67, v197, v67, vcc                      // 000000006C74: 008687C5
	v_add_u32_e32 v185, 32, v184                               // 000000006C78: 697370A0
	v_cmp_lt_i32_e32 vcc, v185, v194                           // 000000006C7C: 7D8385B9
	s_nop 0                                                    // 000000006C80: BF800000
	v_cndmask_b32_e32 v68, v197, v68, vcc                      // 000000006C84: 008889C5
	v_add_u32_e32 v185, 33, v184                               // 000000006C88: 697370A1
	v_cmp_lt_i32_e32 vcc, v185, v194                           // 000000006C8C: 7D8385B9
	s_nop 0                                                    // 000000006C90: BF800000
	v_cndmask_b32_e32 v69, v197, v69, vcc                      // 000000006C94: 008A8BC5
	v_add_u32_e32 v185, 34, v184                               // 000000006C98: 697370A2
	v_cmp_lt_i32_e32 vcc, v185, v194                           // 000000006C9C: 7D8385B9
	s_nop 0                                                    // 000000006CA0: BF800000
	v_cndmask_b32_e32 v70, v197, v70, vcc                      // 000000006CA4: 008C8DC5
	v_add_u32_e32 v185, 35, v184                               // 000000006CA8: 697370A3
	v_cmp_lt_i32_e32 vcc, v185, v194                           // 000000006CAC: 7D8385B9
	s_nop 0                                                    // 000000006CB0: BF800000
	v_cndmask_b32_e32 v71, v197, v71, vcc                      // 000000006CB4: 008E8FC5
	v_add_u32_e32 v185, 40, v184                               // 000000006CB8: 697370A8
	v_cmp_lt_i32_e32 vcc, v185, v194                           // 000000006CBC: 7D8385B9
	s_nop 0                                                    // 000000006CC0: BF800000
	v_cndmask_b32_e32 v72, v197, v72, vcc                      // 000000006CC4: 009091C5
	v_add_u32_e32 v185, 41, v184                               // 000000006CC8: 697370A9
	v_cmp_lt_i32_e32 vcc, v185, v194                           // 000000006CCC: 7D8385B9
	s_nop 0                                                    // 000000006CD0: BF800000
	v_cndmask_b32_e32 v73, v197, v73, vcc                      // 000000006CD4: 009293C5
	v_add_u32_e32 v185, 42, v184                               // 000000006CD8: 697370AA
	v_cmp_lt_i32_e32 vcc, v185, v194                           // 000000006CDC: 7D8385B9
	s_nop 0                                                    // 000000006CE0: BF800000
	v_cndmask_b32_e32 v74, v197, v74, vcc                      // 000000006CE4: 009495C5
	v_add_u32_e32 v185, 43, v184                               // 000000006CE8: 697370AB
	v_cmp_lt_i32_e32 vcc, v185, v194                           // 000000006CEC: 7D8385B9
	s_nop 0                                                    // 000000006CF0: BF800000
	v_cndmask_b32_e32 v75, v197, v75, vcc                      // 000000006CF4: 009697C5
	v_add_u32_e32 v185, 48, v184                               // 000000006CF8: 697370B0
	v_cmp_lt_i32_e32 vcc, v185, v194                           // 000000006CFC: 7D8385B9
	s_nop 0                                                    // 000000006D00: BF800000
	v_cndmask_b32_e32 v76, v197, v76, vcc                      // 000000006D04: 009899C5
	v_add_u32_e32 v185, 49, v184                               // 000000006D08: 697370B1
	v_cmp_lt_i32_e32 vcc, v185, v194                           // 000000006D0C: 7D8385B9
	s_nop 0                                                    // 000000006D10: BF800000
	v_cndmask_b32_e32 v77, v197, v77, vcc                      // 000000006D14: 009A9BC5
	v_add_u32_e32 v185, 50, v184                               // 000000006D18: 697370B2
	v_cmp_lt_i32_e32 vcc, v185, v194                           // 000000006D1C: 7D8385B9
	s_nop 0                                                    // 000000006D20: BF800000
	v_cndmask_b32_e32 v78, v197, v78, vcc                      // 000000006D24: 009C9DC5
	v_add_u32_e32 v185, 51, v184                               // 000000006D28: 697370B3
	v_cmp_lt_i32_e32 vcc, v185, v194                           // 000000006D2C: 7D8385B9
	s_nop 0                                                    // 000000006D30: BF800000
	v_cndmask_b32_e32 v79, v197, v79, vcc                      // 000000006D34: 009E9FC5
	v_add_u32_e32 v185, 56, v184                               // 000000006D38: 697370B8
	v_cmp_lt_i32_e32 vcc, v185, v194                           // 000000006D3C: 7D8385B9
	s_nop 0                                                    // 000000006D40: BF800000
	v_cndmask_b32_e32 v80, v197, v80, vcc                      // 000000006D44: 00A0A1C5
	v_add_u32_e32 v185, 57, v184                               // 000000006D48: 697370B9
	v_cmp_lt_i32_e32 vcc, v185, v194                           // 000000006D4C: 7D8385B9
	s_nop 0                                                    // 000000006D50: BF800000
	v_cndmask_b32_e32 v81, v197, v81, vcc                      // 000000006D54: 00A2A3C5
	v_add_u32_e32 v185, 58, v184                               // 000000006D58: 697370BA
	v_cmp_lt_i32_e32 vcc, v185, v194                           // 000000006D5C: 7D8385B9
	s_nop 0                                                    // 000000006D60: BF800000
	v_cndmask_b32_e32 v82, v197, v82, vcc                      // 000000006D64: 00A4A5C5
	v_add_u32_e32 v185, 59, v184                               // 000000006D68: 697370BB
	v_cmp_lt_i32_e32 vcc, v185, v194                           // 000000006D6C: 7D8385B9
	s_nop 0                                                    // 000000006D70: BF800000
	v_cndmask_b32_e32 v83, v197, v83, vcc                      // 000000006D74: 00A6A7C5
	v_add_u32_e32 v185, 64, v184                               // 000000006D78: 697370C0
	v_cmp_lt_i32_e32 vcc, v185, v194                           // 000000006D7C: 7D8385B9
	s_nop 0                                                    // 000000006D80: BF800000
	v_cndmask_b32_e32 v84, v197, v84, vcc                      // 000000006D84: 00A8A9C5
	v_add_u32_e32 v185, 0x41, v184                             // 000000006D88: 697370FF 00000041
	v_cmp_lt_i32_e32 vcc, v185, v194                           // 000000006D90: 7D8385B9
	s_nop 0                                                    // 000000006D94: BF800000
	v_cndmask_b32_e32 v85, v197, v85, vcc                      // 000000006D98: 00AAABC5
	v_add_u32_e32 v185, 0x42, v184                             // 000000006D9C: 697370FF 00000042
	v_cmp_lt_i32_e32 vcc, v185, v194                           // 000000006DA4: 7D8385B9
	s_nop 0                                                    // 000000006DA8: BF800000
	v_cndmask_b32_e32 v86, v197, v86, vcc                      // 000000006DAC: 00ACADC5
	v_add_u32_e32 v185, 0x43, v184                             // 000000006DB0: 697370FF 00000043
	v_cmp_lt_i32_e32 vcc, v185, v194                           // 000000006DB8: 7D8385B9
	s_nop 0                                                    // 000000006DBC: BF800000
	v_cndmask_b32_e32 v87, v197, v87, vcc                      // 000000006DC0: 00AEAFC5
	v_add_u32_e32 v185, 0x48, v184                             // 000000006DC4: 697370FF 00000048
	v_cmp_lt_i32_e32 vcc, v185, v194                           // 000000006DCC: 7D8385B9
	s_nop 0                                                    // 000000006DD0: BF800000
	v_cndmask_b32_e32 v88, v197, v88, vcc                      // 000000006DD4: 00B0B1C5
	v_add_u32_e32 v185, 0x49, v184                             // 000000006DD8: 697370FF 00000049
	v_cmp_lt_i32_e32 vcc, v185, v194                           // 000000006DE0: 7D8385B9
	s_nop 0                                                    // 000000006DE4: BF800000
	v_cndmask_b32_e32 v89, v197, v89, vcc                      // 000000006DE8: 00B2B3C5
	v_add_u32_e32 v185, 0x4a, v184                             // 000000006DEC: 697370FF 0000004A
	v_cmp_lt_i32_e32 vcc, v185, v194                           // 000000006DF4: 7D8385B9
	s_nop 0                                                    // 000000006DF8: BF800000
	v_cndmask_b32_e32 v90, v197, v90, vcc                      // 000000006DFC: 00B4B5C5
	v_add_u32_e32 v185, 0x4b, v184                             // 000000006E00: 697370FF 0000004B
	v_cmp_lt_i32_e32 vcc, v185, v194                           // 000000006E08: 7D8385B9
	s_nop 0                                                    // 000000006E0C: BF800000
	v_cndmask_b32_e32 v91, v197, v91, vcc                      // 000000006E10: 00B6B7C5
	v_add_u32_e32 v185, 0x50, v184                             // 000000006E14: 697370FF 00000050
	v_cmp_lt_i32_e32 vcc, v185, v194                           // 000000006E1C: 7D8385B9
	s_nop 0                                                    // 000000006E20: BF800000
	v_cndmask_b32_e32 v92, v197, v92, vcc                      // 000000006E24: 00B8B9C5
	v_add_u32_e32 v185, 0x51, v184                             // 000000006E28: 697370FF 00000051
	v_cmp_lt_i32_e32 vcc, v185, v194                           // 000000006E30: 7D8385B9
	s_nop 0                                                    // 000000006E34: BF800000
	v_cndmask_b32_e32 v93, v197, v93, vcc                      // 000000006E38: 00BABBC5
	v_add_u32_e32 v185, 0x52, v184                             // 000000006E3C: 697370FF 00000052
	v_cmp_lt_i32_e32 vcc, v185, v194                           // 000000006E44: 7D8385B9
	s_nop 0                                                    // 000000006E48: BF800000
	v_cndmask_b32_e32 v94, v197, v94, vcc                      // 000000006E4C: 00BCBDC5
	v_add_u32_e32 v185, 0x53, v184                             // 000000006E50: 697370FF 00000053
	v_cmp_lt_i32_e32 vcc, v185, v194                           // 000000006E58: 7D8385B9
	s_nop 0                                                    // 000000006E5C: BF800000
	v_cndmask_b32_e32 v95, v197, v95, vcc                      // 000000006E60: 00BEBFC5
	v_add_u32_e32 v185, 0x58, v184                             // 000000006E64: 697370FF 00000058
	v_cmp_lt_i32_e32 vcc, v185, v194                           // 000000006E6C: 7D8385B9
	s_nop 0                                                    // 000000006E70: BF800000
	v_cndmask_b32_e32 v96, v197, v96, vcc                      // 000000006E74: 00C0C1C5
	v_add_u32_e32 v185, 0x59, v184                             // 000000006E78: 697370FF 00000059
	v_cmp_lt_i32_e32 vcc, v185, v194                           // 000000006E80: 7D8385B9
	s_nop 0                                                    // 000000006E84: BF800000
	v_cndmask_b32_e32 v97, v197, v97, vcc                      // 000000006E88: 00C2C3C5
	v_add_u32_e32 v185, 0x5a, v184                             // 000000006E8C: 697370FF 0000005A
	v_cmp_lt_i32_e32 vcc, v185, v194                           // 000000006E94: 7D8385B9
	s_nop 0                                                    // 000000006E98: BF800000
	v_cndmask_b32_e32 v98, v197, v98, vcc                      // 000000006E9C: 00C4C5C5
	v_add_u32_e32 v185, 0x5b, v184                             // 000000006EA0: 697370FF 0000005B
	v_cmp_lt_i32_e32 vcc, v185, v194                           // 000000006EA8: 7D8385B9
	s_nop 0                                                    // 000000006EAC: BF800000
	v_cndmask_b32_e32 v99, v197, v99, vcc                      // 000000006EB0: 00C6C7C5
	v_add_u32_e32 v185, 0x60, v184                             // 000000006EB4: 697370FF 00000060
	v_cmp_lt_i32_e32 vcc, v185, v194                           // 000000006EBC: 7D8385B9
	s_nop 0                                                    // 000000006EC0: BF800000
	v_cndmask_b32_e32 v100, v197, v100, vcc                    // 000000006EC4: 00C8C9C5
	v_add_u32_e32 v185, 0x61, v184                             // 000000006EC8: 697370FF 00000061
	v_cmp_lt_i32_e32 vcc, v185, v194                           // 000000006ED0: 7D8385B9
	s_nop 0                                                    // 000000006ED4: BF800000
	v_cndmask_b32_e32 v101, v197, v101, vcc                    // 000000006ED8: 00CACBC5
	v_add_u32_e32 v185, 0x62, v184                             // 000000006EDC: 697370FF 00000062
	v_cmp_lt_i32_e32 vcc, v185, v194                           // 000000006EE4: 7D8385B9
	s_nop 0                                                    // 000000006EE8: BF800000
	v_cndmask_b32_e32 v102, v197, v102, vcc                    // 000000006EEC: 00CCCDC5
	v_add_u32_e32 v185, 0x63, v184                             // 000000006EF0: 697370FF 00000063
	v_cmp_lt_i32_e32 vcc, v185, v194                           // 000000006EF8: 7D8385B9
	s_nop 0                                                    // 000000006EFC: BF800000
	v_cndmask_b32_e32 v103, v197, v103, vcc                    // 000000006F00: 00CECFC5
	v_add_u32_e32 v185, 0x68, v184                             // 000000006F04: 697370FF 00000068
	v_cmp_lt_i32_e32 vcc, v185, v194                           // 000000006F0C: 7D8385B9
	s_nop 0                                                    // 000000006F10: BF800000
	v_cndmask_b32_e32 v104, v197, v104, vcc                    // 000000006F14: 00D0D1C5
	v_add_u32_e32 v185, 0x69, v184                             // 000000006F18: 697370FF 00000069
	v_cmp_lt_i32_e32 vcc, v185, v194                           // 000000006F20: 7D8385B9
	s_nop 0                                                    // 000000006F24: BF800000
	v_cndmask_b32_e32 v105, v197, v105, vcc                    // 000000006F28: 00D2D3C5
	v_add_u32_e32 v185, 0x6a, v184                             // 000000006F2C: 697370FF 0000006A
	v_cmp_lt_i32_e32 vcc, v185, v194                           // 000000006F34: 7D8385B9
	s_nop 0                                                    // 000000006F38: BF800000
	v_cndmask_b32_e32 v106, v197, v106, vcc                    // 000000006F3C: 00D4D5C5
	v_add_u32_e32 v185, 0x6b, v184                             // 000000006F40: 697370FF 0000006B
	v_cmp_lt_i32_e32 vcc, v185, v194                           // 000000006F48: 7D8385B9
	s_nop 0                                                    // 000000006F4C: BF800000
	v_cndmask_b32_e32 v107, v197, v107, vcc                    // 000000006F50: 00D6D7C5
	v_add_u32_e32 v185, 0x70, v184                             // 000000006F54: 697370FF 00000070
	v_cmp_lt_i32_e32 vcc, v185, v194                           // 000000006F5C: 7D8385B9
	s_nop 0                                                    // 000000006F60: BF800000
	v_cndmask_b32_e32 v108, v197, v108, vcc                    // 000000006F64: 00D8D9C5
	v_add_u32_e32 v185, 0x71, v184                             // 000000006F68: 697370FF 00000071
	v_cmp_lt_i32_e32 vcc, v185, v194                           // 000000006F70: 7D8385B9
	s_nop 0                                                    // 000000006F74: BF800000
	v_cndmask_b32_e32 v109, v197, v109, vcc                    // 000000006F78: 00DADBC5
	v_add_u32_e32 v185, 0x72, v184                             // 000000006F7C: 697370FF 00000072
	v_cmp_lt_i32_e32 vcc, v185, v194                           // 000000006F84: 7D8385B9
	s_nop 0                                                    // 000000006F88: BF800000
	v_cndmask_b32_e32 v110, v197, v110, vcc                    // 000000006F8C: 00DCDDC5
	v_add_u32_e32 v185, 0x73, v184                             // 000000006F90: 697370FF 00000073
	v_cmp_lt_i32_e32 vcc, v185, v194                           // 000000006F98: 7D8385B9
	s_nop 0                                                    // 000000006F9C: BF800000
	v_cndmask_b32_e32 v111, v197, v111, vcc                    // 000000006FA0: 00DEDFC5
	v_add_u32_e32 v185, 0x78, v184                             // 000000006FA4: 697370FF 00000078
	v_cmp_lt_i32_e32 vcc, v185, v194                           // 000000006FAC: 7D8385B9
	s_nop 0                                                    // 000000006FB0: BF800000
	v_cndmask_b32_e32 v112, v197, v112, vcc                    // 000000006FB4: 00E0E1C5
	v_add_u32_e32 v185, 0x79, v184                             // 000000006FB8: 697370FF 00000079
	v_cmp_lt_i32_e32 vcc, v185, v194                           // 000000006FC0: 7D8385B9
	s_nop 0                                                    // 000000006FC4: BF800000
	v_cndmask_b32_e32 v113, v197, v113, vcc                    // 000000006FC8: 00E2E3C5
	v_add_u32_e32 v185, 0x7a, v184                             // 000000006FCC: 697370FF 0000007A
	v_cmp_lt_i32_e32 vcc, v185, v194                           // 000000006FD4: 7D8385B9
	s_nop 0                                                    // 000000006FD8: BF800000
	v_cndmask_b32_e32 v114, v197, v114, vcc                    // 000000006FDC: 00E4E5C5
	v_add_u32_e32 v185, 0x7b, v184                             // 000000006FE0: 697370FF 0000007B
	v_cmp_lt_i32_e32 vcc, v185, v194                           // 000000006FE8: 7D8385B9
	s_nop 0                                                    // 000000006FEC: BF800000
	v_cndmask_b32_e32 v115, v197, v115, vcc                    // 000000006FF0: 00E6E7C5
	v_mov_b32_e32 v193, v192                                   // 000000006FF4: 7F8203C0
	v_max3_f32 v193, v52, v53, v193                            // 000000006FF8: D1D300C1 07066B34
	v_max3_f32 v193, v54, v55, v193                            // 000000007000: D1D300C1 07066F36
	v_max3_f32 v193, v56, v57, v193                            // 000000007008: D1D300C1 07067338
	v_max3_f32 v193, v58, v59, v193                            // 000000007010: D1D300C1 0706773A
	v_max3_f32 v193, v60, v61, v193                            // 000000007018: D1D300C1 07067B3C
	v_max3_f32 v193, v62, v63, v193                            // 000000007020: D1D300C1 07067F3E
	v_max3_f32 v193, v64, v65, v193                            // 000000007028: D1D300C1 07068340
	v_max3_f32 v193, v66, v67, v193                            // 000000007030: D1D300C1 07068742
	v_max3_f32 v193, v68, v69, v193                            // 000000007038: D1D300C1 07068B44
	v_max3_f32 v193, v70, v71, v193                            // 000000007040: D1D300C1 07068F46
	v_max3_f32 v193, v72, v73, v193                            // 000000007048: D1D300C1 07069348
	v_max3_f32 v193, v74, v75, v193                            // 000000007050: D1D300C1 0706974A
	v_max3_f32 v193, v76, v77, v193                            // 000000007058: D1D300C1 07069B4C
	v_max3_f32 v193, v78, v79, v193                            // 000000007060: D1D300C1 07069F4E
	v_max3_f32 v193, v80, v81, v193                            // 000000007068: D1D300C1 0706A350
	v_max3_f32 v193, v82, v83, v193                            // 000000007070: D1D300C1 0706A752
	v_max3_f32 v193, v84, v85, v193                            // 000000007078: D1D300C1 0706AB54
	v_max3_f32 v193, v86, v87, v193                            // 000000007080: D1D300C1 0706AF56
	v_max3_f32 v193, v88, v89, v193                            // 000000007088: D1D300C1 0706B358
	v_max3_f32 v193, v90, v91, v193                            // 000000007090: D1D300C1 0706B75A
	v_max3_f32 v193, v92, v93, v193                            // 000000007098: D1D300C1 0706BB5C
	v_max3_f32 v193, v94, v95, v193                            // 0000000070A0: D1D300C1 0706BF5E
	v_max3_f32 v193, v96, v97, v193                            // 0000000070A8: D1D300C1 0706C360
	v_max3_f32 v193, v98, v99, v193                            // 0000000070B0: D1D300C1 0706C762
	v_max3_f32 v193, v100, v101, v193                          // 0000000070B8: D1D300C1 0706CB64
	v_max3_f32 v193, v102, v103, v193                          // 0000000070C0: D1D300C1 0706CF66
	v_max3_f32 v193, v104, v105, v193                          // 0000000070C8: D1D300C1 0706D368
	v_max3_f32 v193, v106, v107, v193                          // 0000000070D0: D1D300C1 0706D76A
	v_max3_f32 v193, v108, v109, v193                          // 0000000070D8: D1D300C1 0706DB6C
	v_max3_f32 v193, v110, v111, v193                          // 0000000070E0: D1D300C1 0706DF6E
	v_max3_f32 v193, v112, v113, v193                          // 0000000070E8: D1D300C1 0706E370
	v_max3_f32 v193, v114, v115, v193                          // 0000000070F0: D1D300C1 0706E772
	v_mov_b32_e32 v184, v193                                   // 0000000070F8: 7F7003C1
	s_nop 1                                                    // 0000000070FC: BF800001
	s_nop 0                                                    // 000000007100: BF800000
	v_permlane32_swap_b32_e32 v184, v193                       // 000000007104: 7F70B5C1
	v_max_f32_e32 v193, v193, v184                             // 000000007108: 178371C1
	v_cmp_eq_u32_e64 s[66:67], v197, v193                      // 00000000710C: D0CA0042 000383C5
	s_nop 0                                                    // 000000007114: BF800000
	v_cndmask_b32_e64 v193, v193, 0, s[66:67]                  // 000000007118: D10000C1 010901C1
	v_mul_f32_e64 v184, -s26, v193                             // 000000007120: D10500B8 2003821A
	v_mov_b32_e32 v185, v184                                   // 000000007128: 7F7203B8
	v_pk_fma_f32 v[52:53], v[52:53], s[26:27], v[184:185]      // 00000000712C: D3B04034 1EE03534
	v_pk_fma_f32 v[54:55], v[54:55], s[26:27], v[184:185]      // 000000007134: D3B04036 1EE03536
	v_pk_fma_f32 v[56:57], v[56:57], s[26:27], v[184:185]      // 00000000713C: D3B04038 1EE03538
	v_pk_fma_f32 v[58:59], v[58:59], s[26:27], v[184:185]      // 000000007144: D3B0403A 1EE0353A
	v_pk_fma_f32 v[60:61], v[60:61], s[26:27], v[184:185]      // 00000000714C: D3B0403C 1EE0353C
	v_pk_fma_f32 v[62:63], v[62:63], s[26:27], v[184:185]      // 000000007154: D3B0403E 1EE0353E
	v_pk_fma_f32 v[64:65], v[64:65], s[26:27], v[184:185]      // 00000000715C: D3B04040 1EE03540
	v_pk_fma_f32 v[66:67], v[66:67], s[26:27], v[184:185]      // 000000007164: D3B04042 1EE03542
	v_pk_fma_f32 v[68:69], v[68:69], s[26:27], v[184:185]      // 00000000716C: D3B04044 1EE03544
	v_pk_fma_f32 v[70:71], v[70:71], s[26:27], v[184:185]      // 000000007174: D3B04046 1EE03546
	v_pk_fma_f32 v[72:73], v[72:73], s[26:27], v[184:185]      // 00000000717C: D3B04048 1EE03548
	v_pk_fma_f32 v[74:75], v[74:75], s[26:27], v[184:185]      // 000000007184: D3B0404A 1EE0354A
	v_pk_fma_f32 v[76:77], v[76:77], s[26:27], v[184:185]      // 00000000718C: D3B0404C 1EE0354C
	v_pk_fma_f32 v[78:79], v[78:79], s[26:27], v[184:185]      // 000000007194: D3B0404E 1EE0354E
	v_pk_fma_f32 v[80:81], v[80:81], s[26:27], v[184:185]      // 00000000719C: D3B04050 1EE03550
	v_pk_fma_f32 v[82:83], v[82:83], s[26:27], v[184:185]      // 0000000071A4: D3B04052 1EE03552
	v_pk_fma_f32 v[84:85], v[84:85], s[26:27], v[184:185]      // 0000000071AC: D3B04054 1EE03554
	v_pk_fma_f32 v[86:87], v[86:87], s[26:27], v[184:185]      // 0000000071B4: D3B04056 1EE03556
	v_pk_fma_f32 v[88:89], v[88:89], s[26:27], v[184:185]      // 0000000071BC: D3B04058 1EE03558
	v_pk_fma_f32 v[90:91], v[90:91], s[26:27], v[184:185]      // 0000000071C4: D3B0405A 1EE0355A
	v_pk_fma_f32 v[92:93], v[92:93], s[26:27], v[184:185]      // 0000000071CC: D3B0405C 1EE0355C
	v_pk_fma_f32 v[94:95], v[94:95], s[26:27], v[184:185]      // 0000000071D4: D3B0405E 1EE0355E
	v_pk_fma_f32 v[96:97], v[96:97], s[26:27], v[184:185]      // 0000000071DC: D3B04060 1EE03560
	v_pk_fma_f32 v[98:99], v[98:99], s[26:27], v[184:185]      // 0000000071E4: D3B04062 1EE03562
	v_pk_fma_f32 v[100:101], v[100:101], s[26:27], v[184:185]  // 0000000071EC: D3B04064 1EE03564
	v_pk_fma_f32 v[102:103], v[102:103], s[26:27], v[184:185]  // 0000000071F4: D3B04066 1EE03566
	v_pk_fma_f32 v[104:105], v[104:105], s[26:27], v[184:185]  // 0000000071FC: D3B04068 1EE03568
	v_pk_fma_f32 v[106:107], v[106:107], s[26:27], v[184:185]  // 000000007204: D3B0406A 1EE0356A
	v_pk_fma_f32 v[108:109], v[108:109], s[26:27], v[184:185]  // 00000000720C: D3B0406C 1EE0356C
	v_pk_fma_f32 v[110:111], v[110:111], s[26:27], v[184:185]  // 000000007214: D3B0406E 1EE0356E
	v_pk_fma_f32 v[112:113], v[112:113], s[26:27], v[184:185]  // 00000000721C: D3B04070 1EE03570
	v_pk_fma_f32 v[114:115], v[114:115], s[26:27], v[184:185]  // 000000007224: D3B04072 1EE03572
	s_barrier                                                  // 00000000722C: BF8A0000
	v_exp_f32_e32 v52, v52                                     // 000000007230: 7E684134
	v_exp_f32_e32 v53, v53                                     // 000000007234: 7E6A4135
	v_exp_f32_e32 v54, v54                                     // 000000007238: 7E6C4136
	v_exp_f32_e32 v55, v55                                     // 00000000723C: 7E6E4137
	v_exp_f32_e32 v56, v56                                     // 000000007240: 7E704138
	v_exp_f32_e32 v57, v57                                     // 000000007244: 7E724139
	v_exp_f32_e32 v58, v58                                     // 000000007248: 7E74413A
	v_exp_f32_e32 v59, v59                                     // 00000000724C: 7E76413B
	v_exp_f32_e32 v60, v60                                     // 000000007250: 7E78413C
	v_exp_f32_e32 v61, v61                                     // 000000007254: 7E7A413D
	v_exp_f32_e32 v62, v62                                     // 000000007258: 7E7C413E
	v_exp_f32_e32 v63, v63                                     // 00000000725C: 7E7E413F
	v_exp_f32_e32 v64, v64                                     // 000000007260: 7E804140
	v_exp_f32_e32 v65, v65                                     // 000000007264: 7E824141
	v_exp_f32_e32 v66, v66                                     // 000000007268: 7E844142
	v_exp_f32_e32 v67, v67                                     // 00000000726C: 7E864143
	v_exp_f32_e32 v68, v68                                     // 000000007270: 7E884144
	v_exp_f32_e32 v69, v69                                     // 000000007274: 7E8A4145
	v_exp_f32_e32 v70, v70                                     // 000000007278: 7E8C4146
	v_exp_f32_e32 v71, v71                                     // 00000000727C: 7E8E4147
	v_exp_f32_e32 v72, v72                                     // 000000007280: 7E904148
	v_exp_f32_e32 v73, v73                                     // 000000007284: 7E924149
	v_exp_f32_e32 v74, v74                                     // 000000007288: 7E94414A
	v_exp_f32_e32 v75, v75                                     // 00000000728C: 7E96414B
	v_exp_f32_e32 v76, v76                                     // 000000007290: 7E98414C
	v_exp_f32_e32 v77, v77                                     // 000000007294: 7E9A414D
	v_exp_f32_e32 v78, v78                                     // 000000007298: 7E9C414E
	v_exp_f32_e32 v79, v79                                     // 00000000729C: 7E9E414F
	v_exp_f32_e32 v80, v80                                     // 0000000072A0: 7EA04150
	v_exp_f32_e32 v81, v81                                     // 0000000072A4: 7EA24151
	v_exp_f32_e32 v82, v82                                     // 0000000072A8: 7EA44152
	v_exp_f32_e32 v83, v83                                     // 0000000072AC: 7EA64153
	v_exp_f32_e32 v84, v84                                     // 0000000072B0: 7EA84154
	v_exp_f32_e32 v85, v85                                     // 0000000072B4: 7EAA4155
	v_exp_f32_e32 v86, v86                                     // 0000000072B8: 7EAC4156
	v_exp_f32_e32 v87, v87                                     // 0000000072BC: 7EAE4157
	v_exp_f32_e32 v88, v88                                     // 0000000072C0: 7EB04158
	v_exp_f32_e32 v89, v89                                     // 0000000072C4: 7EB24159
	v_exp_f32_e32 v90, v90                                     // 0000000072C8: 7EB4415A
	v_exp_f32_e32 v91, v91                                     // 0000000072CC: 7EB6415B
	v_exp_f32_e32 v92, v92                                     // 0000000072D0: 7EB8415C
	v_exp_f32_e32 v93, v93                                     // 0000000072D4: 7EBA415D
	v_exp_f32_e32 v94, v94                                     // 0000000072D8: 7EBC415E
	v_exp_f32_e32 v95, v95                                     // 0000000072DC: 7EBE415F
	v_exp_f32_e32 v96, v96                                     // 0000000072E0: 7EC04160
	v_exp_f32_e32 v97, v97                                     // 0000000072E4: 7EC24161
	v_exp_f32_e32 v98, v98                                     // 0000000072E8: 7EC44162
	v_exp_f32_e32 v99, v99                                     // 0000000072EC: 7EC64163
	v_exp_f32_e32 v100, v100                                   // 0000000072F0: 7EC84164
	v_exp_f32_e32 v101, v101                                   // 0000000072F4: 7ECA4165
	v_exp_f32_e32 v102, v102                                   // 0000000072F8: 7ECC4166
	v_exp_f32_e32 v103, v103                                   // 0000000072FC: 7ECE4167
	v_exp_f32_e32 v104, v104                                   // 000000007300: 7ED04168
	v_exp_f32_e32 v105, v105                                   // 000000007304: 7ED24169
	v_exp_f32_e32 v106, v106                                   // 000000007308: 7ED4416A
	v_exp_f32_e32 v107, v107                                   // 00000000730C: 7ED6416B
	v_exp_f32_e32 v108, v108                                   // 000000007310: 7ED8416C
	v_exp_f32_e32 v109, v109                                   // 000000007314: 7EDA416D
	v_exp_f32_e32 v110, v110                                   // 000000007318: 7EDC416E
	v_exp_f32_e32 v111, v111                                   // 00000000731C: 7EDE416F
	v_exp_f32_e32 v112, v112                                   // 000000007320: 7EE04170
	v_exp_f32_e32 v113, v113                                   // 000000007324: 7EE24171
	v_exp_f32_e32 v114, v114                                   // 000000007328: 7EE44172
	v_exp_f32_e32 v115, v115                                   // 00000000732C: 7EE64173
	v_sub_f32_e32 v188, v192, v193                             // 000000007330: 057983C0
	v_cmp_eq_u32_e64 s[66:67], v197, v192                      // 000000007334: D0CA0042 000381C5
	s_nop 0                                                    // 00000000733C: BF800000
	v_cndmask_b32_e64 v188, v188, 0, s[66:67]                  // 000000007340: D10000BC 010901BC
	v_mov_b32_e32 v192, v193                                   // 000000007348: 7F8003C1
	v_mul_f32_e32 v188, s26, v188                              // 00000000734C: 0B79781A
	v_exp_f32_e32 v188, v188                                   // 000000007350: 7F7841BC
	s_nop 0                                                    // 000000007354: BF800000
	v_mul_f32_e32 v190, v188, v190                             // 000000007358: 0B7D7DBC
	v_add_f32_e32 v190, v52, v190                              // 00000000735C: 037D7D34
	v_add_f32_e32 v190, v53, v190                              // 000000007360: 037D7D35
	v_add_f32_e32 v190, v54, v190                              // 000000007364: 037D7D36
	v_add_f32_e32 v190, v55, v190                              // 000000007368: 037D7D37
	v_add_f32_e32 v190, v56, v190                              // 00000000736C: 037D7D38
	v_add_f32_e32 v190, v57, v190                              // 000000007370: 037D7D39
	v_add_f32_e32 v190, v58, v190                              // 000000007374: 037D7D3A
	v_add_f32_e32 v190, v59, v190                              // 000000007378: 037D7D3B
	v_add_f32_e32 v190, v60, v190                              // 00000000737C: 037D7D3C
	v_add_f32_e32 v190, v61, v190                              // 000000007380: 037D7D3D
	v_add_f32_e32 v190, v62, v190                              // 000000007384: 037D7D3E
	v_add_f32_e32 v190, v63, v190                              // 000000007388: 037D7D3F
	v_add_f32_e32 v190, v64, v190                              // 00000000738C: 037D7D40
	v_add_f32_e32 v190, v65, v190                              // 000000007390: 037D7D41
	v_add_f32_e32 v190, v66, v190                              // 000000007394: 037D7D42
	v_add_f32_e32 v190, v67, v190                              // 000000007398: 037D7D43
	v_add_f32_e32 v190, v68, v190                              // 00000000739C: 037D7D44
	v_add_f32_e32 v190, v69, v190                              // 0000000073A0: 037D7D45
	v_add_f32_e32 v190, v70, v190                              // 0000000073A4: 037D7D46
	v_add_f32_e32 v190, v71, v190                              // 0000000073A8: 037D7D47
	v_add_f32_e32 v190, v72, v190                              // 0000000073AC: 037D7D48
	v_add_f32_e32 v190, v73, v190                              // 0000000073B0: 037D7D49
	v_add_f32_e32 v190, v74, v190                              // 0000000073B4: 037D7D4A
	v_add_f32_e32 v190, v75, v190                              // 0000000073B8: 037D7D4B
	v_add_f32_e32 v190, v76, v190                              // 0000000073BC: 037D7D4C
	v_add_f32_e32 v190, v77, v190                              // 0000000073C0: 037D7D4D
	v_add_f32_e32 v190, v78, v190                              // 0000000073C4: 037D7D4E
	v_add_f32_e32 v190, v79, v190                              // 0000000073C8: 037D7D4F
	v_add_f32_e32 v190, v80, v190                              // 0000000073CC: 037D7D50
	v_add_f32_e32 v190, v81, v190                              // 0000000073D0: 037D7D51
	v_add_f32_e32 v190, v82, v190                              // 0000000073D4: 037D7D52
	v_add_f32_e32 v190, v83, v190                              // 0000000073D8: 037D7D53
	v_add_f32_e32 v190, v84, v190                              // 0000000073DC: 037D7D54
	v_add_f32_e32 v190, v85, v190                              // 0000000073E0: 037D7D55
	v_add_f32_e32 v190, v86, v190                              // 0000000073E4: 037D7D56
	v_add_f32_e32 v190, v87, v190                              // 0000000073E8: 037D7D57
	v_add_f32_e32 v190, v88, v190                              // 0000000073EC: 037D7D58
	v_add_f32_e32 v190, v89, v190                              // 0000000073F0: 037D7D59
	v_add_f32_e32 v190, v90, v190                              // 0000000073F4: 037D7D5A
	v_add_f32_e32 v190, v91, v190                              // 0000000073F8: 037D7D5B
	v_add_f32_e32 v190, v92, v190                              // 0000000073FC: 037D7D5C
	v_add_f32_e32 v190, v93, v190                              // 000000007400: 037D7D5D
	v_add_f32_e32 v190, v94, v190                              // 000000007404: 037D7D5E
	v_add_f32_e32 v190, v95, v190                              // 000000007408: 037D7D5F
	v_add_f32_e32 v190, v96, v190                              // 00000000740C: 037D7D60
	v_add_f32_e32 v190, v97, v190                              // 000000007410: 037D7D61
	v_add_f32_e32 v190, v98, v190                              // 000000007414: 037D7D62
	v_add_f32_e32 v190, v99, v190                              // 000000007418: 037D7D63
	v_add_f32_e32 v190, v100, v190                             // 00000000741C: 037D7D64
	v_add_f32_e32 v190, v101, v190                             // 000000007420: 037D7D65
	v_add_f32_e32 v190, v102, v190                             // 000000007424: 037D7D66
	v_add_f32_e32 v190, v103, v190                             // 000000007428: 037D7D67
	v_add_f32_e32 v190, v104, v190                             // 00000000742C: 037D7D68
	v_add_f32_e32 v190, v105, v190                             // 000000007430: 037D7D69
	v_add_f32_e32 v190, v106, v190                             // 000000007434: 037D7D6A
	v_add_f32_e32 v190, v107, v190                             // 000000007438: 037D7D6B
	v_add_f32_e32 v190, v108, v190                             // 00000000743C: 037D7D6C
	v_add_f32_e32 v190, v109, v190                             // 000000007440: 037D7D6D
	v_add_f32_e32 v190, v110, v190                             // 000000007444: 037D7D6E
	v_add_f32_e32 v190, v111, v190                             // 000000007448: 037D7D6F
	v_add_f32_e32 v190, v112, v190                             // 00000000744C: 037D7D70
	v_add_f32_e32 v190, v113, v190                             // 000000007450: 037D7D71
	v_add_f32_e32 v190, v114, v190                             // 000000007454: 037D7D72
	v_add_f32_e32 v190, v115, v190                             // 000000007458: 037D7D73
	v_mul_f32_e32 v116, v188, v116                             // 00000000745C: 0AE8E9BC
	v_mul_f32_e32 v117, v188, v117                             // 000000007460: 0AEAEBBC
	v_mul_f32_e32 v118, v188, v118                             // 000000007464: 0AECEDBC
	v_mul_f32_e32 v119, v188, v119                             // 000000007468: 0AEEEFBC
	v_mul_f32_e32 v120, v188, v120                             // 00000000746C: 0AF0F1BC
	v_mul_f32_e32 v121, v188, v121                             // 000000007470: 0AF2F3BC
	v_mul_f32_e32 v122, v188, v122                             // 000000007474: 0AF4F5BC
	v_mul_f32_e32 v123, v188, v123                             // 000000007478: 0AF6F7BC
	v_mul_f32_e32 v124, v188, v124                             // 00000000747C: 0AF8F9BC
	v_mul_f32_e32 v125, v188, v125                             // 000000007480: 0AFAFBBC
	v_mul_f32_e32 v126, v188, v126                             // 000000007484: 0AFCFDBC
	v_mul_f32_e32 v127, v188, v127                             // 000000007488: 0AFEFFBC
	v_mul_f32_e32 v128, v188, v128                             // 00000000748C: 0B0101BC
	v_mul_f32_e32 v129, v188, v129                             // 000000007490: 0B0303BC
	v_mul_f32_e32 v130, v188, v130                             // 000000007494: 0B0505BC
	v_mul_f32_e32 v131, v188, v131                             // 000000007498: 0B0707BC
	v_mul_f32_e32 v132, v188, v132                             // 00000000749C: 0B0909BC
	v_mul_f32_e32 v133, v188, v133                             // 0000000074A0: 0B0B0BBC
	v_mul_f32_e32 v134, v188, v134                             // 0000000074A4: 0B0D0DBC
	v_mul_f32_e32 v135, v188, v135                             // 0000000074A8: 0B0F0FBC
	v_mul_f32_e32 v136, v188, v136                             // 0000000074AC: 0B1111BC
	v_mul_f32_e32 v137, v188, v137                             // 0000000074B0: 0B1313BC
	v_mul_f32_e32 v138, v188, v138                             // 0000000074B4: 0B1515BC
	v_mul_f32_e32 v139, v188, v139                             // 0000000074B8: 0B1717BC
	v_mul_f32_e32 v140, v188, v140                             // 0000000074BC: 0B1919BC
	v_mul_f32_e32 v141, v188, v141                             // 0000000074C0: 0B1B1BBC
	v_mul_f32_e32 v142, v188, v142                             // 0000000074C4: 0B1D1DBC
	v_mul_f32_e32 v143, v188, v143                             // 0000000074C8: 0B1F1FBC
	v_mul_f32_e32 v144, v188, v144                             // 0000000074CC: 0B2121BC
	v_mul_f32_e32 v145, v188, v145                             // 0000000074D0: 0B2323BC
	v_mul_f32_e32 v146, v188, v146                             // 0000000074D4: 0B2525BC
	v_mul_f32_e32 v147, v188, v147                             // 0000000074D8: 0B2727BC
	v_mul_f32_e32 v148, v188, v148                             // 0000000074DC: 0B2929BC
	v_mul_f32_e32 v149, v188, v149                             // 0000000074E0: 0B2B2BBC
	v_mul_f32_e32 v150, v188, v150                             // 0000000074E4: 0B2D2DBC
	v_mul_f32_e32 v151, v188, v151                             // 0000000074E8: 0B2F2FBC
	v_mul_f32_e32 v152, v188, v152                             // 0000000074EC: 0B3131BC
	v_mul_f32_e32 v153, v188, v153                             // 0000000074F0: 0B3333BC
	v_mul_f32_e32 v154, v188, v154                             // 0000000074F4: 0B3535BC
	v_mul_f32_e32 v155, v188, v155                             // 0000000074F8: 0B3737BC
	v_mul_f32_e32 v156, v188, v156                             // 0000000074FC: 0B3939BC
	v_mul_f32_e32 v157, v188, v157                             // 000000007500: 0B3B3BBC
	v_mul_f32_e32 v158, v188, v158                             // 000000007504: 0B3D3DBC
	v_mul_f32_e32 v159, v188, v159                             // 000000007508: 0B3F3FBC
	v_mul_f32_e32 v160, v188, v160                             // 00000000750C: 0B4141BC
	v_mul_f32_e32 v161, v188, v161                             // 000000007510: 0B4343BC
	v_mul_f32_e32 v162, v188, v162                             // 000000007514: 0B4545BC
	v_mul_f32_e32 v163, v188, v163                             // 000000007518: 0B4747BC
	v_mul_f32_e32 v164, v188, v164                             // 00000000751C: 0B4949BC
	v_mul_f32_e32 v165, v188, v165                             // 000000007520: 0B4B4BBC
	v_mul_f32_e32 v166, v188, v166                             // 000000007524: 0B4D4DBC
	v_mul_f32_e32 v167, v188, v167                             // 000000007528: 0B4F4FBC
	v_mul_f32_e32 v168, v188, v168                             // 00000000752C: 0B5151BC
	v_mul_f32_e32 v169, v188, v169                             // 000000007530: 0B5353BC
	v_mul_f32_e32 v170, v188, v170                             // 000000007534: 0B5555BC
	v_mul_f32_e32 v171, v188, v171                             // 000000007538: 0B5757BC
	v_mul_f32_e32 v172, v188, v172                             // 00000000753C: 0B5959BC
	v_mul_f32_e32 v173, v188, v173                             // 000000007540: 0B5B5BBC
	v_mul_f32_e32 v174, v188, v174                             // 000000007544: 0B5D5DBC
	v_mul_f32_e32 v175, v188, v175                             // 000000007548: 0B5F5FBC
	v_mul_f32_e32 v176, v188, v176                             // 00000000754C: 0B6161BC
	v_mul_f32_e32 v177, v188, v177                             // 000000007550: 0B6363BC
	v_mul_f32_e32 v178, v188, v178                             // 000000007554: 0B6565BC
	v_mul_f32_e32 v179, v188, v179                             // 000000007558: 0B6767BC
	v_mov_b32_e32 v189, v188                                   // 00000000755C: 7F7A03BC
	s_barrier                                                  // 000000007560: BF8A0000
	v_cvt_pk_fp8_f32 v52, v52, v53                             // 000000007564: D2A20034 00026B34
	v_cvt_pk_fp8_f32 v52, v54, v55 op_sel:[0,0,1]              // 00000000756C: D2A24034 00026F36
	v_cvt_pk_fp8_f32 v53, v56, v57                             // 000000007574: D2A20035 00027338
	v_cvt_pk_fp8_f32 v53, v58, v59 op_sel:[0,0,1]              // 00000000757C: D2A24035 0002773A
	v_cvt_pk_fp8_f32 v54, v60, v61                             // 000000007584: D2A20036 00027B3C
	v_cvt_pk_fp8_f32 v54, v62, v63 op_sel:[0,0,1]              // 00000000758C: D2A24036 00027F3E
	v_cvt_pk_fp8_f32 v55, v64, v65                             // 000000007594: D2A20037 00028340
	v_cvt_pk_fp8_f32 v55, v66, v67 op_sel:[0,0,1]              // 00000000759C: D2A24037 00028742
	v_cvt_pk_fp8_f32 v56, v68, v69                             // 0000000075A4: D2A20038 00028B44
	v_cvt_pk_fp8_f32 v56, v70, v71 op_sel:[0,0,1]              // 0000000075AC: D2A24038 00028F46
	v_cvt_pk_fp8_f32 v57, v72, v73                             // 0000000075B4: D2A20039 00029348
	v_cvt_pk_fp8_f32 v57, v74, v75 op_sel:[0,0,1]              // 0000000075BC: D2A24039 0002974A
	v_cvt_pk_fp8_f32 v58, v76, v77                             // 0000000075C4: D2A2003A 00029B4C
	v_cvt_pk_fp8_f32 v58, v78, v79 op_sel:[0,0,1]              // 0000000075CC: D2A2403A 00029F4E
	v_cvt_pk_fp8_f32 v59, v80, v81                             // 0000000075D4: D2A2003B 0002A350
	v_cvt_pk_fp8_f32 v59, v82, v83 op_sel:[0,0,1]              // 0000000075DC: D2A2403B 0002A752
	v_cvt_pk_fp8_f32 v60, v84, v85                             // 0000000075E4: D2A2003C 0002AB54
	v_cvt_pk_fp8_f32 v60, v86, v87 op_sel:[0,0,1]              // 0000000075EC: D2A2403C 0002AF56
	v_cvt_pk_fp8_f32 v61, v88, v89                             // 0000000075F4: D2A2003D 0002B358
	v_cvt_pk_fp8_f32 v61, v90, v91 op_sel:[0,0,1]              // 0000000075FC: D2A2403D 0002B75A
	v_cvt_pk_fp8_f32 v62, v92, v93                             // 000000007604: D2A2003E 0002BB5C
	v_cvt_pk_fp8_f32 v62, v94, v95 op_sel:[0,0,1]              // 00000000760C: D2A2403E 0002BF5E
	v_cvt_pk_fp8_f32 v63, v96, v97                             // 000000007614: D2A2003F 0002C360
	v_cvt_pk_fp8_f32 v63, v98, v99 op_sel:[0,0,1]              // 00000000761C: D2A2403F 0002C762
	v_cvt_pk_fp8_f32 v64, v100, v101                           // 000000007624: D2A20040 0002CB64
	v_cvt_pk_fp8_f32 v64, v102, v103 op_sel:[0,0,1]            // 00000000762C: D2A24040 0002CF66
	v_cvt_pk_fp8_f32 v65, v104, v105                           // 000000007634: D2A20041 0002D368
	v_cvt_pk_fp8_f32 v65, v106, v107 op_sel:[0,0,1]            // 00000000763C: D2A24041 0002D76A
	v_cvt_pk_fp8_f32 v66, v108, v109                           // 000000007644: D2A20042 0002DB6C
	v_cvt_pk_fp8_f32 v66, v110, v111 op_sel:[0,0,1]            // 00000000764C: D2A24042 0002DF6E
	v_cvt_pk_fp8_f32 v67, v112, v113                           // 000000007654: D2A20043 0002E370
	v_cvt_pk_fp8_f32 v67, v114, v115 op_sel:[0,0,1]            // 00000000765C: D2A24043 0002E772
	s_barrier                                                  // 000000007664: BF8A0000
	s_waitcnt vmcnt(0)                                         // 000000007668: BF8C0F70
	s_waitcnt lgkmcnt(8)                                       // 00000000766C: BF8CC87F
	s_setprio 1                                                // 000000007670: BF8F0001
	s_barrier                                                  // 000000007674: BF8A0000
	v_mfma_f32_32x32x64_f8f6f4 v[116:131], v[20:27], v[52:59], v[116:131]// 000000007678: D3AE0074 05D26914
	ds_read_b64_tr_b8 v[36:37], v219 offset:32                 // 000000007680: D9C40020 240000DB
	ds_read_b64_tr_b8 v[38:39], v219 offset:288                // 000000007688: D9C40120 260000DB
	ds_read_b64_tr_b8 v[40:41], v219 offset:544                // 000000007690: D9C40220 280000DB
	ds_read_b64_tr_b8 v[42:43], v219 offset:800                // 000000007698: D9C40320 2A0000DB
	s_waitcnt lgkmcnt(8)                                       // 0000000076A0: BF8CC87F
	v_mfma_f32_32x32x64_f8f6f4 v[116:131], v[28:35], v[60:67], v[116:131]// 0000000076A4: D3AE0074 05D2791C
	ds_read_b64_tr_b8 v[44:45], v219 offset:8352               // 0000000076AC: D9C420A0 2C0000DB
	ds_read_b64_tr_b8 v[46:47], v219 offset:8608               // 0000000076B4: D9C421A0 2E0000DB
	ds_read_b64_tr_b8 v[48:49], v219 offset:8864               // 0000000076BC: D9C422A0 300000DB
	ds_read_b64_tr_b8 v[50:51], v219 offset:9120               // 0000000076C4: D9C423A0 320000DB
	s_waitcnt lgkmcnt(8)                                       // 0000000076CC: BF8CC87F
	v_mfma_f32_32x32x64_f8f6f4 v[132:147], v[36:43], v[52:59], v[132:147]// 0000000076D0: D3AE0084 06126924
	ds_read_b64_tr_b8 v[20:21], v219 offset:64                 // 0000000076D8: D9C40040 140000DB
	ds_read_b64_tr_b8 v[22:23], v219 offset:320                // 0000000076E0: D9C40140 160000DB
	ds_read_b64_tr_b8 v[24:25], v219 offset:576                // 0000000076E8: D9C40240 180000DB
	ds_read_b64_tr_b8 v[26:27], v219 offset:832                // 0000000076F0: D9C40340 1A0000DB
	s_waitcnt lgkmcnt(8)                                       // 0000000076F8: BF8CC87F
	v_mfma_f32_32x32x64_f8f6f4 v[132:147], v[44:51], v[60:67], v[132:147]// 0000000076FC: D3AE0084 0612792C
	ds_read_b64_tr_b8 v[28:29], v219 offset:8384               // 000000007704: D9C420C0 1C0000DB
	ds_read_b64_tr_b8 v[30:31], v219 offset:8640               // 00000000770C: D9C421C0 1E0000DB
	ds_read_b64_tr_b8 v[32:33], v219 offset:8896               // 000000007714: D9C422C0 200000DB
	ds_read_b64_tr_b8 v[34:35], v219 offset:9152               // 00000000771C: D9C423C0 220000DB
	s_waitcnt lgkmcnt(8)                                       // 000000007724: BF8CC87F
	v_mfma_f32_32x32x64_f8f6f4 v[148:163], v[20:27], v[52:59], v[148:163]// 000000007728: D3AE0094 06526914
	ds_read_b64_tr_b8 v[36:37], v219 offset:96                 // 000000007730: D9C40060 240000DB
	ds_read_b64_tr_b8 v[38:39], v219 offset:352                // 000000007738: D9C40160 260000DB
	ds_read_b64_tr_b8 v[40:41], v219 offset:608                // 000000007740: D9C40260 280000DB
	ds_read_b64_tr_b8 v[42:43], v219 offset:864                // 000000007748: D9C40360 2A0000DB
	s_waitcnt lgkmcnt(8)                                       // 000000007750: BF8CC87F
	v_mfma_f32_32x32x64_f8f6f4 v[148:163], v[28:35], v[60:67], v[148:163]// 000000007754: D3AE0094 0652791C
	ds_read_b64_tr_b8 v[44:45], v219 offset:8416               // 00000000775C: D9C420E0 2C0000DB
	ds_read_b64_tr_b8 v[46:47], v219 offset:8672               // 000000007764: D9C421E0 2E0000DB
	ds_read_b64_tr_b8 v[48:49], v219 offset:8928               // 00000000776C: D9C422E0 300000DB
	ds_read_b64_tr_b8 v[50:51], v219 offset:9184               // 000000007774: D9C423E0 320000DB
	s_waitcnt lgkmcnt(8)                                       // 00000000777C: BF8CC87F
	v_mfma_f32_32x32x64_f8f6f4 v[164:179], v[36:43], v[52:59], v[164:179]// 000000007780: D3AE00A4 06926924
	ds_read_b128 v[20:23], v218 offset:16640                   // 000000007788: D9FE4100 140000DA
	ds_read_b128 v[24:27], v218 offset:16672                   // 000000007790: D9FE4120 180000DA
	s_waitcnt lgkmcnt(6)                                       // 000000007798: BF8CC67F
	v_mfma_f32_32x32x64_f8f6f4 v[164:179], v[44:51], v[60:67], v[164:179]// 00000000779C: D3AE00A4 0692792C
	ds_read_b128 v[28:31], v218 offset:20800                   // 0000000077A4: D9FE5140 1C0000DA
	ds_read_b128 v[32:35], v218 offset:20832                   // 0000000077AC: D9FE5160 200000DA
	s_addk_i32 s68, 0x80                                       // 0000000077B4: B7440080

00000000000077b8 <label_3BB8>:
	s_cmp_lt_i32 s68, s43                                      // 0000000077B8: BF042B44
	s_cbranch_scc0 label_6524                                  // 0000000077BC: BF840A59
	s_waitcnt lgkmcnt(2)                                       // 0000000077C0: BF8CC27F
	v_mfma_f32_32x32x64_f8f6f4 v[52:67], v[20:27], v[4:11], 0  // 0000000077C4: D3AE0034 02020914
	v_mul_i32_i24_dpp v184, v180, v222 quad_perm:[0,0,0,0] row_mask:0xf bank_mask:0xf// 0000000077CC: 0D71BCFA FF0000B4
	v_mul_i32_i24_dpp v185, v180, v222 quad_perm:[1,1,1,1] row_mask:0xf bank_mask:0xf// 0000000077D4: 0D73BCFA FF0055B4
	v_add_u32_e32 v211, v210, v184                             // 0000000077DC: 69A771D2
	v_add_u32_e32 v212, v210, v185                             // 0000000077E0: 69A973D2
	ds_read_b128 v[36:39], v218 offset:17152                   // 0000000077E4: D9FE4300 240000DA
	ds_read_b128 v[40:43], v218 offset:17184                   // 0000000077EC: D9FE4320 280000DA
	s_waitcnt lgkmcnt(2)                                       // 0000000077F4: BF8CC27F
	v_mfma_f32_32x32x64_f8f6f4 v[52:67], v[28:35], v[12:19], v[52:67]// 0000000077F8: D3AE0034 04D2191C
	s_add_u32 m0, s71, 0                                       // 000000007800: 807C8047
	buffer_load_dwordx4 v211, s[12:15], 0 offen lds            // 000000007804: E05D1000 800300D3
	ds_read_b128 v[44:47], v218 offset:21312                   // 00000000780C: D9FE5340 2C0000DA
	ds_read_b128 v[48:51], v218 offset:21344                   // 000000007814: D9FE5360 300000DA
	s_waitcnt lgkmcnt(2)                                       // 00000000781C: BF8CC27F
	v_mfma_f32_32x32x64_f8f6f4 v[68:83], v[36:43], v[4:11], 0  // 000000007820: D3AE0044 02020924
	s_add_u32 m0, s71, 0x410                                   // 000000007828: 807CFF47 00000410
	buffer_load_dwordx4 v212, s[12:15], 0 offen lds            // 000000007830: E05D1000 800300D4
	ds_read_b128 v[20:23], v218 offset:24960                   // 000000007838: D9FE6180 140000DA
	ds_read_b128 v[24:27], v218 offset:24992                   // 000000007840: D9FE61A0 180000DA
	s_waitcnt lgkmcnt(2)                                       // 000000007848: BF8CC27F
	v_mfma_f32_32x32x64_f8f6f4 v[68:83], v[44:51], v[12:19], v[68:83]// 00000000784C: D3AE0044 0512192C
	s_add_u32 m0, s71, 0x1000                                  // 000000007854: 807CFF47 00001000
	buffer_load_dwordx4 v211, s[12:15], 0 offen offset:64 lds  // 00000000785C: E05D1040 800300D3
	ds_read_b128 v[28:31], v218 offset:29120                   // 000000007864: D9FE71C0 1C0000DA
	ds_read_b128 v[32:35], v218 offset:29152                   // 00000000786C: D9FE71E0 200000DA
	s_waitcnt lgkmcnt(2)                                       // 000000007874: BF8CC27F
	v_mfma_f32_32x32x64_f8f6f4 v[84:99], v[20:27], v[4:11], 0  // 000000007878: D3AE0054 02020914
	s_add_u32 m0, s71, 0x1410                                  // 000000007880: 807CFF47 00001410
	buffer_load_dwordx4 v212, s[12:15], 0 offen offset:64 lds  // 000000007888: E05D1040 800300D4
	ds_read_b128 v[36:39], v218 offset:25472                   // 000000007890: D9FE6380 240000DA
	ds_read_b128 v[40:43], v218 offset:25504                   // 000000007898: D9FE63A0 280000DA
	s_waitcnt lgkmcnt(2)                                       // 0000000078A0: BF8CC27F
	v_mfma_f32_32x32x64_f8f6f4 v[84:99], v[28:35], v[12:19], v[84:99]// 0000000078A4: D3AE0054 0552191C
	ds_read_b128 v[44:47], v218 offset:29632                   // 0000000078AC: D9FE73C0 2C0000DA
	ds_read_b128 v[48:51], v218 offset:29664                   // 0000000078B4: D9FE73E0 300000DA
	s_waitcnt lgkmcnt(2)                                       // 0000000078BC: BF8CC27F
	v_mfma_f32_32x32x64_f8f6f4 v[100:115], v[36:43], v[4:11], 0// 0000000078C0: D3AE0064 02020924
	s_barrier                                                  // 0000000078C8: BF8A0000
	ds_read_b64_tr_b8 v[20:21], v219 offset:16640              // 0000000078CC: D9C44100 140000DB
	ds_read_b64_tr_b8 v[22:23], v219 offset:16896              // 0000000078D4: D9C44200 160000DB
	ds_read_b64_tr_b8 v[24:25], v219 offset:17152              // 0000000078DC: D9C44300 180000DB
	ds_read_b64_tr_b8 v[26:27], v219 offset:17408              // 0000000078E4: D9C44400 1A0000DB
	s_waitcnt lgkmcnt(4)                                       // 0000000078EC: BF8CC47F
	v_mfma_f32_32x32x64_f8f6f4 v[100:115], v[44:51], v[12:19], v[100:115]// 0000000078F0: D3AE0064 0592192C
	ds_read_b64_tr_b8 v[28:29], v219 offset:24960              // 0000000078F8: D9C46180 1C0000DB
	ds_read_b64_tr_b8 v[30:31], v219 offset:25216              // 000000007900: D9C46280 1E0000DB
	ds_read_b64_tr_b8 v[32:33], v219 offset:25472              // 000000007908: D9C46380 200000DB
	ds_read_b64_tr_b8 v[34:35], v219 offset:25728              // 000000007910: D9C46480 220000DB
	s_nop 5                                                    // 000000007918: BF800005
	s_barrier                                                  // 00000000791C: BF8A0000
	s_setprio 0                                                // 000000007920: BF8F0000
	s_barrier                                                  // 000000007924: BF8A0000
	v_add_u32_e32 v184, s68, v195                              // 000000007928: 69718644
	v_add_u32_e32 v185, 0, v184                                // 00000000792C: 69737080
	v_cmp_lt_i32_e32 vcc, v185, v194                           // 000000007930: 7D8385B9
	s_nop 0                                                    // 000000007934: BF800000
	v_cndmask_b32_e32 v52, v197, v52, vcc                      // 000000007938: 006869C5
	v_add_u32_e32 v185, 1, v184                                // 00000000793C: 69737081
	v_cmp_lt_i32_e32 vcc, v185, v194                           // 000000007940: 7D8385B9
	s_nop 0                                                    // 000000007944: BF800000
	v_cndmask_b32_e32 v53, v197, v53, vcc                      // 000000007948: 006A6BC5
	v_add_u32_e32 v185, 2, v184                                // 00000000794C: 69737082
	v_cmp_lt_i32_e32 vcc, v185, v194                           // 000000007950: 7D8385B9
	s_nop 0                                                    // 000000007954: BF800000
	v_cndmask_b32_e32 v54, v197, v54, vcc                      // 000000007958: 006C6DC5
	v_add_u32_e32 v185, 3, v184                                // 00000000795C: 69737083
	v_cmp_lt_i32_e32 vcc, v185, v194                           // 000000007960: 7D8385B9
	s_nop 0                                                    // 000000007964: BF800000
	v_cndmask_b32_e32 v55, v197, v55, vcc                      // 000000007968: 006E6FC5
	v_add_u32_e32 v185, 8, v184                                // 00000000796C: 69737088
	v_cmp_lt_i32_e32 vcc, v185, v194                           // 000000007970: 7D8385B9
	s_nop 0                                                    // 000000007974: BF800000
	v_cndmask_b32_e32 v56, v197, v56, vcc                      // 000000007978: 007071C5
	v_add_u32_e32 v185, 9, v184                                // 00000000797C: 69737089
	v_cmp_lt_i32_e32 vcc, v185, v194                           // 000000007980: 7D8385B9
	s_nop 0                                                    // 000000007984: BF800000
	v_cndmask_b32_e32 v57, v197, v57, vcc                      // 000000007988: 007273C5
	v_add_u32_e32 v185, 10, v184                               // 00000000798C: 6973708A
	v_cmp_lt_i32_e32 vcc, v185, v194                           // 000000007990: 7D8385B9
	s_nop 0                                                    // 000000007994: BF800000
	v_cndmask_b32_e32 v58, v197, v58, vcc                      // 000000007998: 007475C5
	v_add_u32_e32 v185, 11, v184                               // 00000000799C: 6973708B
	v_cmp_lt_i32_e32 vcc, v185, v194                           // 0000000079A0: 7D8385B9
	s_nop 0                                                    // 0000000079A4: BF800000
	v_cndmask_b32_e32 v59, v197, v59, vcc                      // 0000000079A8: 007677C5
	v_add_u32_e32 v185, 16, v184                               // 0000000079AC: 69737090
	v_cmp_lt_i32_e32 vcc, v185, v194                           // 0000000079B0: 7D8385B9
	s_nop 0                                                    // 0000000079B4: BF800000
	v_cndmask_b32_e32 v60, v197, v60, vcc                      // 0000000079B8: 007879C5
	v_add_u32_e32 v185, 17, v184                               // 0000000079BC: 69737091
	v_cmp_lt_i32_e32 vcc, v185, v194                           // 0000000079C0: 7D8385B9
	s_nop 0                                                    // 0000000079C4: BF800000
	v_cndmask_b32_e32 v61, v197, v61, vcc                      // 0000000079C8: 007A7BC5
	v_add_u32_e32 v185, 18, v184                               // 0000000079CC: 69737092
	v_cmp_lt_i32_e32 vcc, v185, v194                           // 0000000079D0: 7D8385B9
	s_nop 0                                                    // 0000000079D4: BF800000
	v_cndmask_b32_e32 v62, v197, v62, vcc                      // 0000000079D8: 007C7DC5
	v_add_u32_e32 v185, 19, v184                               // 0000000079DC: 69737093
	v_cmp_lt_i32_e32 vcc, v185, v194                           // 0000000079E0: 7D8385B9
	s_nop 0                                                    // 0000000079E4: BF800000
	v_cndmask_b32_e32 v63, v197, v63, vcc                      // 0000000079E8: 007E7FC5
	v_add_u32_e32 v185, 24, v184                               // 0000000079EC: 69737098
	v_cmp_lt_i32_e32 vcc, v185, v194                           // 0000000079F0: 7D8385B9
	s_nop 0                                                    // 0000000079F4: BF800000
	v_cndmask_b32_e32 v64, v197, v64, vcc                      // 0000000079F8: 008081C5
	v_add_u32_e32 v185, 25, v184                               // 0000000079FC: 69737099
	v_cmp_lt_i32_e32 vcc, v185, v194                           // 000000007A00: 7D8385B9
	s_nop 0                                                    // 000000007A04: BF800000
	v_cndmask_b32_e32 v65, v197, v65, vcc                      // 000000007A08: 008283C5
	v_add_u32_e32 v185, 26, v184                               // 000000007A0C: 6973709A
	v_cmp_lt_i32_e32 vcc, v185, v194                           // 000000007A10: 7D8385B9
	s_nop 0                                                    // 000000007A14: BF800000
	v_cndmask_b32_e32 v66, v197, v66, vcc                      // 000000007A18: 008485C5
	v_add_u32_e32 v185, 27, v184                               // 000000007A1C: 6973709B
	v_cmp_lt_i32_e32 vcc, v185, v194                           // 000000007A20: 7D8385B9
	s_nop 0                                                    // 000000007A24: BF800000
	v_cndmask_b32_e32 v67, v197, v67, vcc                      // 000000007A28: 008687C5
	v_add_u32_e32 v185, 32, v184                               // 000000007A2C: 697370A0
	v_cmp_lt_i32_e32 vcc, v185, v194                           // 000000007A30: 7D8385B9
	s_nop 0                                                    // 000000007A34: BF800000
	v_cndmask_b32_e32 v68, v197, v68, vcc                      // 000000007A38: 008889C5
	v_add_u32_e32 v185, 33, v184                               // 000000007A3C: 697370A1
	v_cmp_lt_i32_e32 vcc, v185, v194                           // 000000007A40: 7D8385B9
	s_nop 0                                                    // 000000007A44: BF800000
	v_cndmask_b32_e32 v69, v197, v69, vcc                      // 000000007A48: 008A8BC5
	v_add_u32_e32 v185, 34, v184                               // 000000007A4C: 697370A2
	v_cmp_lt_i32_e32 vcc, v185, v194                           // 000000007A50: 7D8385B9
	s_nop 0                                                    // 000000007A54: BF800000
	v_cndmask_b32_e32 v70, v197, v70, vcc                      // 000000007A58: 008C8DC5
	v_add_u32_e32 v185, 35, v184                               // 000000007A5C: 697370A3
	v_cmp_lt_i32_e32 vcc, v185, v194                           // 000000007A60: 7D8385B9
	s_nop 0                                                    // 000000007A64: BF800000
	v_cndmask_b32_e32 v71, v197, v71, vcc                      // 000000007A68: 008E8FC5
	v_add_u32_e32 v185, 40, v184                               // 000000007A6C: 697370A8
	v_cmp_lt_i32_e32 vcc, v185, v194                           // 000000007A70: 7D8385B9
	s_nop 0                                                    // 000000007A74: BF800000
	v_cndmask_b32_e32 v72, v197, v72, vcc                      // 000000007A78: 009091C5
	v_add_u32_e32 v185, 41, v184                               // 000000007A7C: 697370A9
	v_cmp_lt_i32_e32 vcc, v185, v194                           // 000000007A80: 7D8385B9
	s_nop 0                                                    // 000000007A84: BF800000
	v_cndmask_b32_e32 v73, v197, v73, vcc                      // 000000007A88: 009293C5
	v_add_u32_e32 v185, 42, v184                               // 000000007A8C: 697370AA
	v_cmp_lt_i32_e32 vcc, v185, v194                           // 000000007A90: 7D8385B9
	s_nop 0                                                    // 000000007A94: BF800000
	v_cndmask_b32_e32 v74, v197, v74, vcc                      // 000000007A98: 009495C5
	v_add_u32_e32 v185, 43, v184                               // 000000007A9C: 697370AB
	v_cmp_lt_i32_e32 vcc, v185, v194                           // 000000007AA0: 7D8385B9
	s_nop 0                                                    // 000000007AA4: BF800000
	v_cndmask_b32_e32 v75, v197, v75, vcc                      // 000000007AA8: 009697C5
	v_add_u32_e32 v185, 48, v184                               // 000000007AAC: 697370B0
	v_cmp_lt_i32_e32 vcc, v185, v194                           // 000000007AB0: 7D8385B9
	s_nop 0                                                    // 000000007AB4: BF800000
	v_cndmask_b32_e32 v76, v197, v76, vcc                      // 000000007AB8: 009899C5
	v_add_u32_e32 v185, 49, v184                               // 000000007ABC: 697370B1
	v_cmp_lt_i32_e32 vcc, v185, v194                           // 000000007AC0: 7D8385B9
	s_nop 0                                                    // 000000007AC4: BF800000
	v_cndmask_b32_e32 v77, v197, v77, vcc                      // 000000007AC8: 009A9BC5
	v_add_u32_e32 v185, 50, v184                               // 000000007ACC: 697370B2
	v_cmp_lt_i32_e32 vcc, v185, v194                           // 000000007AD0: 7D8385B9
	s_nop 0                                                    // 000000007AD4: BF800000
	v_cndmask_b32_e32 v78, v197, v78, vcc                      // 000000007AD8: 009C9DC5
	v_add_u32_e32 v185, 51, v184                               // 000000007ADC: 697370B3
	v_cmp_lt_i32_e32 vcc, v185, v194                           // 000000007AE0: 7D8385B9
	s_nop 0                                                    // 000000007AE4: BF800000
	v_cndmask_b32_e32 v79, v197, v79, vcc                      // 000000007AE8: 009E9FC5
	v_add_u32_e32 v185, 56, v184                               // 000000007AEC: 697370B8
	v_cmp_lt_i32_e32 vcc, v185, v194                           // 000000007AF0: 7D8385B9
	s_nop 0                                                    // 000000007AF4: BF800000
	v_cndmask_b32_e32 v80, v197, v80, vcc                      // 000000007AF8: 00A0A1C5
	v_add_u32_e32 v185, 57, v184                               // 000000007AFC: 697370B9
	v_cmp_lt_i32_e32 vcc, v185, v194                           // 000000007B00: 7D8385B9
	s_nop 0                                                    // 000000007B04: BF800000
	v_cndmask_b32_e32 v81, v197, v81, vcc                      // 000000007B08: 00A2A3C5
	v_add_u32_e32 v185, 58, v184                               // 000000007B0C: 697370BA
	v_cmp_lt_i32_e32 vcc, v185, v194                           // 000000007B10: 7D8385B9
	s_nop 0                                                    // 000000007B14: BF800000
	v_cndmask_b32_e32 v82, v197, v82, vcc                      // 000000007B18: 00A4A5C5
	v_add_u32_e32 v185, 59, v184                               // 000000007B1C: 697370BB
	v_cmp_lt_i32_e32 vcc, v185, v194                           // 000000007B20: 7D8385B9
	s_nop 0                                                    // 000000007B24: BF800000
	v_cndmask_b32_e32 v83, v197, v83, vcc                      // 000000007B28: 00A6A7C5
	v_add_u32_e32 v185, 64, v184                               // 000000007B2C: 697370C0
	v_cmp_lt_i32_e32 vcc, v185, v194                           // 000000007B30: 7D8385B9
	s_nop 0                                                    // 000000007B34: BF800000
	v_cndmask_b32_e32 v84, v197, v84, vcc                      // 000000007B38: 00A8A9C5
	v_add_u32_e32 v185, 0x41, v184                             // 000000007B3C: 697370FF 00000041
	v_cmp_lt_i32_e32 vcc, v185, v194                           // 000000007B44: 7D8385B9
	s_nop 0                                                    // 000000007B48: BF800000
	v_cndmask_b32_e32 v85, v197, v85, vcc                      // 000000007B4C: 00AAABC5
	v_add_u32_e32 v185, 0x42, v184                             // 000000007B50: 697370FF 00000042
	v_cmp_lt_i32_e32 vcc, v185, v194                           // 000000007B58: 7D8385B9
	s_nop 0                                                    // 000000007B5C: BF800000
	v_cndmask_b32_e32 v86, v197, v86, vcc                      // 000000007B60: 00ACADC5
	v_add_u32_e32 v185, 0x43, v184                             // 000000007B64: 697370FF 00000043
	v_cmp_lt_i32_e32 vcc, v185, v194                           // 000000007B6C: 7D8385B9
	s_nop 0                                                    // 000000007B70: BF800000
	v_cndmask_b32_e32 v87, v197, v87, vcc                      // 000000007B74: 00AEAFC5
	v_add_u32_e32 v185, 0x48, v184                             // 000000007B78: 697370FF 00000048
	v_cmp_lt_i32_e32 vcc, v185, v194                           // 000000007B80: 7D8385B9
	s_nop 0                                                    // 000000007B84: BF800000
	v_cndmask_b32_e32 v88, v197, v88, vcc                      // 000000007B88: 00B0B1C5
	v_add_u32_e32 v185, 0x49, v184                             // 000000007B8C: 697370FF 00000049
	v_cmp_lt_i32_e32 vcc, v185, v194                           // 000000007B94: 7D8385B9
	s_nop 0                                                    // 000000007B98: BF800000
	v_cndmask_b32_e32 v89, v197, v89, vcc                      // 000000007B9C: 00B2B3C5
	v_add_u32_e32 v185, 0x4a, v184                             // 000000007BA0: 697370FF 0000004A
	v_cmp_lt_i32_e32 vcc, v185, v194                           // 000000007BA8: 7D8385B9
	s_nop 0                                                    // 000000007BAC: BF800000
	v_cndmask_b32_e32 v90, v197, v90, vcc                      // 000000007BB0: 00B4B5C5
	v_add_u32_e32 v185, 0x4b, v184                             // 000000007BB4: 697370FF 0000004B
	v_cmp_lt_i32_e32 vcc, v185, v194                           // 000000007BBC: 7D8385B9
	s_nop 0                                                    // 000000007BC0: BF800000
	v_cndmask_b32_e32 v91, v197, v91, vcc                      // 000000007BC4: 00B6B7C5
	v_add_u32_e32 v185, 0x50, v184                             // 000000007BC8: 697370FF 00000050
	v_cmp_lt_i32_e32 vcc, v185, v194                           // 000000007BD0: 7D8385B9
	s_nop 0                                                    // 000000007BD4: BF800000
	v_cndmask_b32_e32 v92, v197, v92, vcc                      // 000000007BD8: 00B8B9C5
	v_add_u32_e32 v185, 0x51, v184                             // 000000007BDC: 697370FF 00000051
	v_cmp_lt_i32_e32 vcc, v185, v194                           // 000000007BE4: 7D8385B9
	s_nop 0                                                    // 000000007BE8: BF800000
	v_cndmask_b32_e32 v93, v197, v93, vcc                      // 000000007BEC: 00BABBC5
	v_add_u32_e32 v185, 0x52, v184                             // 000000007BF0: 697370FF 00000052
	v_cmp_lt_i32_e32 vcc, v185, v194                           // 000000007BF8: 7D8385B9
	s_nop 0                                                    // 000000007BFC: BF800000
	v_cndmask_b32_e32 v94, v197, v94, vcc                      // 000000007C00: 00BCBDC5
	v_add_u32_e32 v185, 0x53, v184                             // 000000007C04: 697370FF 00000053
	v_cmp_lt_i32_e32 vcc, v185, v194                           // 000000007C0C: 7D8385B9
	s_nop 0                                                    // 000000007C10: BF800000
	v_cndmask_b32_e32 v95, v197, v95, vcc                      // 000000007C14: 00BEBFC5
	v_add_u32_e32 v185, 0x58, v184                             // 000000007C18: 697370FF 00000058
	v_cmp_lt_i32_e32 vcc, v185, v194                           // 000000007C20: 7D8385B9
	s_nop 0                                                    // 000000007C24: BF800000
	v_cndmask_b32_e32 v96, v197, v96, vcc                      // 000000007C28: 00C0C1C5
	v_add_u32_e32 v185, 0x59, v184                             // 000000007C2C: 697370FF 00000059
	v_cmp_lt_i32_e32 vcc, v185, v194                           // 000000007C34: 7D8385B9
	s_nop 0                                                    // 000000007C38: BF800000
	v_cndmask_b32_e32 v97, v197, v97, vcc                      // 000000007C3C: 00C2C3C5
	v_add_u32_e32 v185, 0x5a, v184                             // 000000007C40: 697370FF 0000005A
	v_cmp_lt_i32_e32 vcc, v185, v194                           // 000000007C48: 7D8385B9
	s_nop 0                                                    // 000000007C4C: BF800000
	v_cndmask_b32_e32 v98, v197, v98, vcc                      // 000000007C50: 00C4C5C5
	v_add_u32_e32 v185, 0x5b, v184                             // 000000007C54: 697370FF 0000005B
	v_cmp_lt_i32_e32 vcc, v185, v194                           // 000000007C5C: 7D8385B9
	s_nop 0                                                    // 000000007C60: BF800000
	v_cndmask_b32_e32 v99, v197, v99, vcc                      // 000000007C64: 00C6C7C5
	v_add_u32_e32 v185, 0x60, v184                             // 000000007C68: 697370FF 00000060
	v_cmp_lt_i32_e32 vcc, v185, v194                           // 000000007C70: 7D8385B9
	s_nop 0                                                    // 000000007C74: BF800000
	v_cndmask_b32_e32 v100, v197, v100, vcc                    // 000000007C78: 00C8C9C5
	v_add_u32_e32 v185, 0x61, v184                             // 000000007C7C: 697370FF 00000061
	v_cmp_lt_i32_e32 vcc, v185, v194                           // 000000007C84: 7D8385B9
	s_nop 0                                                    // 000000007C88: BF800000
	v_cndmask_b32_e32 v101, v197, v101, vcc                    // 000000007C8C: 00CACBC5
	v_add_u32_e32 v185, 0x62, v184                             // 000000007C90: 697370FF 00000062
	v_cmp_lt_i32_e32 vcc, v185, v194                           // 000000007C98: 7D8385B9
	s_nop 0                                                    // 000000007C9C: BF800000
	v_cndmask_b32_e32 v102, v197, v102, vcc                    // 000000007CA0: 00CCCDC5
	v_add_u32_e32 v185, 0x63, v184                             // 000000007CA4: 697370FF 00000063
	v_cmp_lt_i32_e32 vcc, v185, v194                           // 000000007CAC: 7D8385B9
	s_nop 0                                                    // 000000007CB0: BF800000
	v_cndmask_b32_e32 v103, v197, v103, vcc                    // 000000007CB4: 00CECFC5
	v_add_u32_e32 v185, 0x68, v184                             // 000000007CB8: 697370FF 00000068
	v_cmp_lt_i32_e32 vcc, v185, v194                           // 000000007CC0: 7D8385B9
	s_nop 0                                                    // 000000007CC4: BF800000
	v_cndmask_b32_e32 v104, v197, v104, vcc                    // 000000007CC8: 00D0D1C5
	v_add_u32_e32 v185, 0x69, v184                             // 000000007CCC: 697370FF 00000069
	v_cmp_lt_i32_e32 vcc, v185, v194                           // 000000007CD4: 7D8385B9
	s_nop 0                                                    // 000000007CD8: BF800000
	v_cndmask_b32_e32 v105, v197, v105, vcc                    // 000000007CDC: 00D2D3C5
	v_add_u32_e32 v185, 0x6a, v184                             // 000000007CE0: 697370FF 0000006A
	v_cmp_lt_i32_e32 vcc, v185, v194                           // 000000007CE8: 7D8385B9
	s_nop 0                                                    // 000000007CEC: BF800000
	v_cndmask_b32_e32 v106, v197, v106, vcc                    // 000000007CF0: 00D4D5C5
	v_add_u32_e32 v185, 0x6b, v184                             // 000000007CF4: 697370FF 0000006B
	v_cmp_lt_i32_e32 vcc, v185, v194                           // 000000007CFC: 7D8385B9
	s_nop 0                                                    // 000000007D00: BF800000
	v_cndmask_b32_e32 v107, v197, v107, vcc                    // 000000007D04: 00D6D7C5
	v_add_u32_e32 v185, 0x70, v184                             // 000000007D08: 697370FF 00000070
	v_cmp_lt_i32_e32 vcc, v185, v194                           // 000000007D10: 7D8385B9
	s_nop 0                                                    // 000000007D14: BF800000
	v_cndmask_b32_e32 v108, v197, v108, vcc                    // 000000007D18: 00D8D9C5
	v_add_u32_e32 v185, 0x71, v184                             // 000000007D1C: 697370FF 00000071
	v_cmp_lt_i32_e32 vcc, v185, v194                           // 000000007D24: 7D8385B9
	s_nop 0                                                    // 000000007D28: BF800000
	v_cndmask_b32_e32 v109, v197, v109, vcc                    // 000000007D2C: 00DADBC5
	v_add_u32_e32 v185, 0x72, v184                             // 000000007D30: 697370FF 00000072
	v_cmp_lt_i32_e32 vcc, v185, v194                           // 000000007D38: 7D8385B9
	s_nop 0                                                    // 000000007D3C: BF800000
	v_cndmask_b32_e32 v110, v197, v110, vcc                    // 000000007D40: 00DCDDC5
	v_add_u32_e32 v185, 0x73, v184                             // 000000007D44: 697370FF 00000073
	v_cmp_lt_i32_e32 vcc, v185, v194                           // 000000007D4C: 7D8385B9
	s_nop 0                                                    // 000000007D50: BF800000
	v_cndmask_b32_e32 v111, v197, v111, vcc                    // 000000007D54: 00DEDFC5
	v_add_u32_e32 v185, 0x78, v184                             // 000000007D58: 697370FF 00000078
	v_cmp_lt_i32_e32 vcc, v185, v194                           // 000000007D60: 7D8385B9
	s_nop 0                                                    // 000000007D64: BF800000
	v_cndmask_b32_e32 v112, v197, v112, vcc                    // 000000007D68: 00E0E1C5
	v_add_u32_e32 v185, 0x79, v184                             // 000000007D6C: 697370FF 00000079
	v_cmp_lt_i32_e32 vcc, v185, v194                           // 000000007D74: 7D8385B9
	s_nop 0                                                    // 000000007D78: BF800000
	v_cndmask_b32_e32 v113, v197, v113, vcc                    // 000000007D7C: 00E2E3C5
	v_add_u32_e32 v185, 0x7a, v184                             // 000000007D80: 697370FF 0000007A
	v_cmp_lt_i32_e32 vcc, v185, v194                           // 000000007D88: 7D8385B9
	s_nop 0                                                    // 000000007D8C: BF800000
	v_cndmask_b32_e32 v114, v197, v114, vcc                    // 000000007D90: 00E4E5C5
	v_add_u32_e32 v185, 0x7b, v184                             // 000000007D94: 697370FF 0000007B
	v_cmp_lt_i32_e32 vcc, v185, v194                           // 000000007D9C: 7D8385B9
	s_nop 0                                                    // 000000007DA0: BF800000
	v_cndmask_b32_e32 v115, v197, v115, vcc                    // 000000007DA4: 00E6E7C5
	v_mov_b32_e32 v193, v192                                   // 000000007DA8: 7F8203C0
	v_max3_f32 v193, v52, v53, v193                            // 000000007DAC: D1D300C1 07066B34
	v_max3_f32 v193, v54, v55, v193                            // 000000007DB4: D1D300C1 07066F36
	v_max3_f32 v193, v56, v57, v193                            // 000000007DBC: D1D300C1 07067338
	v_max3_f32 v193, v58, v59, v193                            // 000000007DC4: D1D300C1 0706773A
	v_max3_f32 v193, v60, v61, v193                            // 000000007DCC: D1D300C1 07067B3C
	v_max3_f32 v193, v62, v63, v193                            // 000000007DD4: D1D300C1 07067F3E
	v_max3_f32 v193, v64, v65, v193                            // 000000007DDC: D1D300C1 07068340
	v_max3_f32 v193, v66, v67, v193                            // 000000007DE4: D1D300C1 07068742
	v_max3_f32 v193, v68, v69, v193                            // 000000007DEC: D1D300C1 07068B44
	v_max3_f32 v193, v70, v71, v193                            // 000000007DF4: D1D300C1 07068F46
	v_max3_f32 v193, v72, v73, v193                            // 000000007DFC: D1D300C1 07069348
	v_max3_f32 v193, v74, v75, v193                            // 000000007E04: D1D300C1 0706974A
	v_max3_f32 v193, v76, v77, v193                            // 000000007E0C: D1D300C1 07069B4C
	v_max3_f32 v193, v78, v79, v193                            // 000000007E14: D1D300C1 07069F4E
	v_max3_f32 v193, v80, v81, v193                            // 000000007E1C: D1D300C1 0706A350
	v_max3_f32 v193, v82, v83, v193                            // 000000007E24: D1D300C1 0706A752
	v_max3_f32 v193, v84, v85, v193                            // 000000007E2C: D1D300C1 0706AB54
	v_max3_f32 v193, v86, v87, v193                            // 000000007E34: D1D300C1 0706AF56
	v_max3_f32 v193, v88, v89, v193                            // 000000007E3C: D1D300C1 0706B358
	v_max3_f32 v193, v90, v91, v193                            // 000000007E44: D1D300C1 0706B75A
	v_max3_f32 v193, v92, v93, v193                            // 000000007E4C: D1D300C1 0706BB5C
	v_max3_f32 v193, v94, v95, v193                            // 000000007E54: D1D300C1 0706BF5E
	v_max3_f32 v193, v96, v97, v193                            // 000000007E5C: D1D300C1 0706C360
	v_max3_f32 v193, v98, v99, v193                            // 000000007E64: D1D300C1 0706C762
	v_max3_f32 v193, v100, v101, v193                          // 000000007E6C: D1D300C1 0706CB64
	v_max3_f32 v193, v102, v103, v193                          // 000000007E74: D1D300C1 0706CF66
	v_max3_f32 v193, v104, v105, v193                          // 000000007E7C: D1D300C1 0706D368
	v_max3_f32 v193, v106, v107, v193                          // 000000007E84: D1D300C1 0706D76A
	v_max3_f32 v193, v108, v109, v193                          // 000000007E8C: D1D300C1 0706DB6C
	v_max3_f32 v193, v110, v111, v193                          // 000000007E94: D1D300C1 0706DF6E
	v_max3_f32 v193, v112, v113, v193                          // 000000007E9C: D1D300C1 0706E370
	v_max3_f32 v193, v114, v115, v193                          // 000000007EA4: D1D300C1 0706E772
	v_mov_b32_e32 v184, v193                                   // 000000007EAC: 7F7003C1
	s_nop 1                                                    // 000000007EB0: BF800001
	s_nop 0                                                    // 000000007EB4: BF800000
	v_permlane32_swap_b32_e32 v184, v193                       // 000000007EB8: 7F70B5C1
	v_max_f32_e32 v193, v193, v184                             // 000000007EBC: 178371C1
	v_cmp_eq_u32_e64 s[66:67], v197, v193                      // 000000007EC0: D0CA0042 000383C5
	s_nop 0                                                    // 000000007EC8: BF800000
	v_cndmask_b32_e64 v193, v193, 0, s[66:67]                  // 000000007ECC: D10000C1 010901C1
	v_mul_f32_e64 v184, -s26, v193                             // 000000007ED4: D10500B8 2003821A
	v_mov_b32_e32 v185, v184                                   // 000000007EDC: 7F7203B8
	v_pk_fma_f32 v[52:53], v[52:53], s[26:27], v[184:185]      // 000000007EE0: D3B04034 1EE03534
	v_pk_fma_f32 v[54:55], v[54:55], s[26:27], v[184:185]      // 000000007EE8: D3B04036 1EE03536
	v_pk_fma_f32 v[56:57], v[56:57], s[26:27], v[184:185]      // 000000007EF0: D3B04038 1EE03538
	v_pk_fma_f32 v[58:59], v[58:59], s[26:27], v[184:185]      // 000000007EF8: D3B0403A 1EE0353A
	v_pk_fma_f32 v[60:61], v[60:61], s[26:27], v[184:185]      // 000000007F00: D3B0403C 1EE0353C
	v_pk_fma_f32 v[62:63], v[62:63], s[26:27], v[184:185]      // 000000007F08: D3B0403E 1EE0353E
	v_pk_fma_f32 v[64:65], v[64:65], s[26:27], v[184:185]      // 000000007F10: D3B04040 1EE03540
	v_pk_fma_f32 v[66:67], v[66:67], s[26:27], v[184:185]      // 000000007F18: D3B04042 1EE03542
	v_pk_fma_f32 v[68:69], v[68:69], s[26:27], v[184:185]      // 000000007F20: D3B04044 1EE03544
	v_pk_fma_f32 v[70:71], v[70:71], s[26:27], v[184:185]      // 000000007F28: D3B04046 1EE03546
	v_pk_fma_f32 v[72:73], v[72:73], s[26:27], v[184:185]      // 000000007F30: D3B04048 1EE03548
	v_pk_fma_f32 v[74:75], v[74:75], s[26:27], v[184:185]      // 000000007F38: D3B0404A 1EE0354A
	v_pk_fma_f32 v[76:77], v[76:77], s[26:27], v[184:185]      // 000000007F40: D3B0404C 1EE0354C
	v_pk_fma_f32 v[78:79], v[78:79], s[26:27], v[184:185]      // 000000007F48: D3B0404E 1EE0354E
	v_pk_fma_f32 v[80:81], v[80:81], s[26:27], v[184:185]      // 000000007F50: D3B04050 1EE03550
	v_pk_fma_f32 v[82:83], v[82:83], s[26:27], v[184:185]      // 000000007F58: D3B04052 1EE03552
	v_pk_fma_f32 v[84:85], v[84:85], s[26:27], v[184:185]      // 000000007F60: D3B04054 1EE03554
	v_pk_fma_f32 v[86:87], v[86:87], s[26:27], v[184:185]      // 000000007F68: D3B04056 1EE03556
	v_pk_fma_f32 v[88:89], v[88:89], s[26:27], v[184:185]      // 000000007F70: D3B04058 1EE03558
	v_pk_fma_f32 v[90:91], v[90:91], s[26:27], v[184:185]      // 000000007F78: D3B0405A 1EE0355A
	v_pk_fma_f32 v[92:93], v[92:93], s[26:27], v[184:185]      // 000000007F80: D3B0405C 1EE0355C
	v_pk_fma_f32 v[94:95], v[94:95], s[26:27], v[184:185]      // 000000007F88: D3B0405E 1EE0355E
	v_pk_fma_f32 v[96:97], v[96:97], s[26:27], v[184:185]      // 000000007F90: D3B04060 1EE03560
	v_pk_fma_f32 v[98:99], v[98:99], s[26:27], v[184:185]      // 000000007F98: D3B04062 1EE03562
	v_pk_fma_f32 v[100:101], v[100:101], s[26:27], v[184:185]  // 000000007FA0: D3B04064 1EE03564
	v_pk_fma_f32 v[102:103], v[102:103], s[26:27], v[184:185]  // 000000007FA8: D3B04066 1EE03566
	v_pk_fma_f32 v[104:105], v[104:105], s[26:27], v[184:185]  // 000000007FB0: D3B04068 1EE03568
	v_pk_fma_f32 v[106:107], v[106:107], s[26:27], v[184:185]  // 000000007FB8: D3B0406A 1EE0356A
	v_pk_fma_f32 v[108:109], v[108:109], s[26:27], v[184:185]  // 000000007FC0: D3B0406C 1EE0356C
	v_pk_fma_f32 v[110:111], v[110:111], s[26:27], v[184:185]  // 000000007FC8: D3B0406E 1EE0356E
	v_pk_fma_f32 v[112:113], v[112:113], s[26:27], v[184:185]  // 000000007FD0: D3B04070 1EE03570
	v_pk_fma_f32 v[114:115], v[114:115], s[26:27], v[184:185]  // 000000007FD8: D3B04072 1EE03572
	s_barrier                                                  // 000000007FE0: BF8A0000
	v_exp_f32_e32 v52, v52                                     // 000000007FE4: 7E684134
	v_exp_f32_e32 v53, v53                                     // 000000007FE8: 7E6A4135
	v_exp_f32_e32 v54, v54                                     // 000000007FEC: 7E6C4136
	v_exp_f32_e32 v55, v55                                     // 000000007FF0: 7E6E4137
	v_exp_f32_e32 v56, v56                                     // 000000007FF4: 7E704138
	v_exp_f32_e32 v57, v57                                     // 000000007FF8: 7E724139
	v_exp_f32_e32 v58, v58                                     // 000000007FFC: 7E74413A
	v_exp_f32_e32 v59, v59                                     // 000000008000: 7E76413B
	v_exp_f32_e32 v60, v60                                     // 000000008004: 7E78413C
	v_exp_f32_e32 v61, v61                                     // 000000008008: 7E7A413D
	v_exp_f32_e32 v62, v62                                     // 00000000800C: 7E7C413E
	v_exp_f32_e32 v63, v63                                     // 000000008010: 7E7E413F
	v_exp_f32_e32 v64, v64                                     // 000000008014: 7E804140
	v_exp_f32_e32 v65, v65                                     // 000000008018: 7E824141
	v_exp_f32_e32 v66, v66                                     // 00000000801C: 7E844142
	v_exp_f32_e32 v67, v67                                     // 000000008020: 7E864143
	v_exp_f32_e32 v68, v68                                     // 000000008024: 7E884144
	v_exp_f32_e32 v69, v69                                     // 000000008028: 7E8A4145
	v_exp_f32_e32 v70, v70                                     // 00000000802C: 7E8C4146
	v_exp_f32_e32 v71, v71                                     // 000000008030: 7E8E4147
	v_exp_f32_e32 v72, v72                                     // 000000008034: 7E904148
	v_exp_f32_e32 v73, v73                                     // 000000008038: 7E924149
	v_exp_f32_e32 v74, v74                                     // 00000000803C: 7E94414A
	v_exp_f32_e32 v75, v75                                     // 000000008040: 7E96414B
	v_exp_f32_e32 v76, v76                                     // 000000008044: 7E98414C
	v_exp_f32_e32 v77, v77                                     // 000000008048: 7E9A414D
	v_exp_f32_e32 v78, v78                                     // 00000000804C: 7E9C414E
	v_exp_f32_e32 v79, v79                                     // 000000008050: 7E9E414F
	v_exp_f32_e32 v80, v80                                     // 000000008054: 7EA04150
	v_exp_f32_e32 v81, v81                                     // 000000008058: 7EA24151
	v_exp_f32_e32 v82, v82                                     // 00000000805C: 7EA44152
	v_exp_f32_e32 v83, v83                                     // 000000008060: 7EA64153
	v_exp_f32_e32 v84, v84                                     // 000000008064: 7EA84154
	v_exp_f32_e32 v85, v85                                     // 000000008068: 7EAA4155
	v_exp_f32_e32 v86, v86                                     // 00000000806C: 7EAC4156
	v_exp_f32_e32 v87, v87                                     // 000000008070: 7EAE4157
	v_exp_f32_e32 v88, v88                                     // 000000008074: 7EB04158
	v_exp_f32_e32 v89, v89                                     // 000000008078: 7EB24159
	v_exp_f32_e32 v90, v90                                     // 00000000807C: 7EB4415A
	v_exp_f32_e32 v91, v91                                     // 000000008080: 7EB6415B
	v_exp_f32_e32 v92, v92                                     // 000000008084: 7EB8415C
	v_exp_f32_e32 v93, v93                                     // 000000008088: 7EBA415D
	v_exp_f32_e32 v94, v94                                     // 00000000808C: 7EBC415E
	v_exp_f32_e32 v95, v95                                     // 000000008090: 7EBE415F
	v_exp_f32_e32 v96, v96                                     // 000000008094: 7EC04160
	v_exp_f32_e32 v97, v97                                     // 000000008098: 7EC24161
	v_exp_f32_e32 v98, v98                                     // 00000000809C: 7EC44162
	v_exp_f32_e32 v99, v99                                     // 0000000080A0: 7EC64163
	v_exp_f32_e32 v100, v100                                   // 0000000080A4: 7EC84164
	v_exp_f32_e32 v101, v101                                   // 0000000080A8: 7ECA4165
	v_exp_f32_e32 v102, v102                                   // 0000000080AC: 7ECC4166
	v_exp_f32_e32 v103, v103                                   // 0000000080B0: 7ECE4167
	v_exp_f32_e32 v104, v104                                   // 0000000080B4: 7ED04168
	v_exp_f32_e32 v105, v105                                   // 0000000080B8: 7ED24169
	v_exp_f32_e32 v106, v106                                   // 0000000080BC: 7ED4416A
	v_exp_f32_e32 v107, v107                                   // 0000000080C0: 7ED6416B
	v_exp_f32_e32 v108, v108                                   // 0000000080C4: 7ED8416C
	v_exp_f32_e32 v109, v109                                   // 0000000080C8: 7EDA416D
	v_exp_f32_e32 v110, v110                                   // 0000000080CC: 7EDC416E
	v_exp_f32_e32 v111, v111                                   // 0000000080D0: 7EDE416F
	v_exp_f32_e32 v112, v112                                   // 0000000080D4: 7EE04170
	v_exp_f32_e32 v113, v113                                   // 0000000080D8: 7EE24171
	v_exp_f32_e32 v114, v114                                   // 0000000080DC: 7EE44172
	v_exp_f32_e32 v115, v115                                   // 0000000080E0: 7EE64173
	v_sub_f32_e32 v188, v192, v193                             // 0000000080E4: 057983C0
	v_cmp_eq_u32_e64 s[66:67], v197, v192                      // 0000000080E8: D0CA0042 000381C5
	s_nop 0                                                    // 0000000080F0: BF800000
	v_cndmask_b32_e64 v188, v188, 0, s[66:67]                  // 0000000080F4: D10000BC 010901BC
	v_mov_b32_e32 v192, v193                                   // 0000000080FC: 7F8003C1
	v_mul_f32_e32 v188, s26, v188                              // 000000008100: 0B79781A
	v_exp_f32_e32 v188, v188                                   // 000000008104: 7F7841BC
	s_nop 0                                                    // 000000008108: BF800000
	v_mul_f32_e32 v190, v188, v190                             // 00000000810C: 0B7D7DBC
	v_add_f32_e32 v190, v52, v190                              // 000000008110: 037D7D34
	v_add_f32_e32 v190, v53, v190                              // 000000008114: 037D7D35
	v_add_f32_e32 v190, v54, v190                              // 000000008118: 037D7D36
	v_add_f32_e32 v190, v55, v190                              // 00000000811C: 037D7D37
	v_add_f32_e32 v190, v56, v190                              // 000000008120: 037D7D38
	v_add_f32_e32 v190, v57, v190                              // 000000008124: 037D7D39
	v_add_f32_e32 v190, v58, v190                              // 000000008128: 037D7D3A
	v_add_f32_e32 v190, v59, v190                              // 00000000812C: 037D7D3B
	v_add_f32_e32 v190, v60, v190                              // 000000008130: 037D7D3C
	v_add_f32_e32 v190, v61, v190                              // 000000008134: 037D7D3D
	v_add_f32_e32 v190, v62, v190                              // 000000008138: 037D7D3E
	v_add_f32_e32 v190, v63, v190                              // 00000000813C: 037D7D3F
	v_add_f32_e32 v190, v64, v190                              // 000000008140: 037D7D40
	v_add_f32_e32 v190, v65, v190                              // 000000008144: 037D7D41
	v_add_f32_e32 v190, v66, v190                              // 000000008148: 037D7D42
	v_add_f32_e32 v190, v67, v190                              // 00000000814C: 037D7D43
	v_add_f32_e32 v190, v68, v190                              // 000000008150: 037D7D44
	v_add_f32_e32 v190, v69, v190                              // 000000008154: 037D7D45
	v_add_f32_e32 v190, v70, v190                              // 000000008158: 037D7D46
	v_add_f32_e32 v190, v71, v190                              // 00000000815C: 037D7D47
	v_add_f32_e32 v190, v72, v190                              // 000000008160: 037D7D48
	v_add_f32_e32 v190, v73, v190                              // 000000008164: 037D7D49
	v_add_f32_e32 v190, v74, v190                              // 000000008168: 037D7D4A
	v_add_f32_e32 v190, v75, v190                              // 00000000816C: 037D7D4B
	v_add_f32_e32 v190, v76, v190                              // 000000008170: 037D7D4C
	v_add_f32_e32 v190, v77, v190                              // 000000008174: 037D7D4D
	v_add_f32_e32 v190, v78, v190                              // 000000008178: 037D7D4E
	v_add_f32_e32 v190, v79, v190                              // 00000000817C: 037D7D4F
	v_add_f32_e32 v190, v80, v190                              // 000000008180: 037D7D50
	v_add_f32_e32 v190, v81, v190                              // 000000008184: 037D7D51
	v_add_f32_e32 v190, v82, v190                              // 000000008188: 037D7D52
	v_add_f32_e32 v190, v83, v190                              // 00000000818C: 037D7D53
	v_add_f32_e32 v190, v84, v190                              // 000000008190: 037D7D54
	v_add_f32_e32 v190, v85, v190                              // 000000008194: 037D7D55
	v_add_f32_e32 v190, v86, v190                              // 000000008198: 037D7D56
	v_add_f32_e32 v190, v87, v190                              // 00000000819C: 037D7D57
	v_add_f32_e32 v190, v88, v190                              // 0000000081A0: 037D7D58
	v_add_f32_e32 v190, v89, v190                              // 0000000081A4: 037D7D59
	v_add_f32_e32 v190, v90, v190                              // 0000000081A8: 037D7D5A
	v_add_f32_e32 v190, v91, v190                              // 0000000081AC: 037D7D5B
	v_add_f32_e32 v190, v92, v190                              // 0000000081B0: 037D7D5C
	v_add_f32_e32 v190, v93, v190                              // 0000000081B4: 037D7D5D
	v_add_f32_e32 v190, v94, v190                              // 0000000081B8: 037D7D5E
	v_add_f32_e32 v190, v95, v190                              // 0000000081BC: 037D7D5F
	v_add_f32_e32 v190, v96, v190                              // 0000000081C0: 037D7D60
	v_add_f32_e32 v190, v97, v190                              // 0000000081C4: 037D7D61
	v_add_f32_e32 v190, v98, v190                              // 0000000081C8: 037D7D62
	v_add_f32_e32 v190, v99, v190                              // 0000000081CC: 037D7D63
	v_add_f32_e32 v190, v100, v190                             // 0000000081D0: 037D7D64
	v_add_f32_e32 v190, v101, v190                             // 0000000081D4: 037D7D65
	v_add_f32_e32 v190, v102, v190                             // 0000000081D8: 037D7D66
	v_add_f32_e32 v190, v103, v190                             // 0000000081DC: 037D7D67
	v_add_f32_e32 v190, v104, v190                             // 0000000081E0: 037D7D68
	v_add_f32_e32 v190, v105, v190                             // 0000000081E4: 037D7D69
	v_add_f32_e32 v190, v106, v190                             // 0000000081E8: 037D7D6A
	v_add_f32_e32 v190, v107, v190                             // 0000000081EC: 037D7D6B
	v_add_f32_e32 v190, v108, v190                             // 0000000081F0: 037D7D6C
	v_add_f32_e32 v190, v109, v190                             // 0000000081F4: 037D7D6D
	v_add_f32_e32 v190, v110, v190                             // 0000000081F8: 037D7D6E
	v_add_f32_e32 v190, v111, v190                             // 0000000081FC: 037D7D6F
	v_add_f32_e32 v190, v112, v190                             // 000000008200: 037D7D70
	v_add_f32_e32 v190, v113, v190                             // 000000008204: 037D7D71
	v_add_f32_e32 v190, v114, v190                             // 000000008208: 037D7D72
	v_add_f32_e32 v190, v115, v190                             // 00000000820C: 037D7D73
	v_mul_f32_e32 v116, v188, v116                             // 000000008210: 0AE8E9BC
	v_mul_f32_e32 v117, v188, v117                             // 000000008214: 0AEAEBBC
	v_mul_f32_e32 v118, v188, v118                             // 000000008218: 0AECEDBC
	v_mul_f32_e32 v119, v188, v119                             // 00000000821C: 0AEEEFBC
	v_mul_f32_e32 v120, v188, v120                             // 000000008220: 0AF0F1BC
	v_mul_f32_e32 v121, v188, v121                             // 000000008224: 0AF2F3BC
	v_mul_f32_e32 v122, v188, v122                             // 000000008228: 0AF4F5BC
	v_mul_f32_e32 v123, v188, v123                             // 00000000822C: 0AF6F7BC
	v_mul_f32_e32 v124, v188, v124                             // 000000008230: 0AF8F9BC
	v_mul_f32_e32 v125, v188, v125                             // 000000008234: 0AFAFBBC
	v_mul_f32_e32 v126, v188, v126                             // 000000008238: 0AFCFDBC
	v_mul_f32_e32 v127, v188, v127                             // 00000000823C: 0AFEFFBC
	v_mul_f32_e32 v128, v188, v128                             // 000000008240: 0B0101BC
	v_mul_f32_e32 v129, v188, v129                             // 000000008244: 0B0303BC
	v_mul_f32_e32 v130, v188, v130                             // 000000008248: 0B0505BC
	v_mul_f32_e32 v131, v188, v131                             // 00000000824C: 0B0707BC
	v_mul_f32_e32 v132, v188, v132                             // 000000008250: 0B0909BC
	v_mul_f32_e32 v133, v188, v133                             // 000000008254: 0B0B0BBC
	v_mul_f32_e32 v134, v188, v134                             // 000000008258: 0B0D0DBC
	v_mul_f32_e32 v135, v188, v135                             // 00000000825C: 0B0F0FBC
	v_mul_f32_e32 v136, v188, v136                             // 000000008260: 0B1111BC
	v_mul_f32_e32 v137, v188, v137                             // 000000008264: 0B1313BC
	v_mul_f32_e32 v138, v188, v138                             // 000000008268: 0B1515BC
	v_mul_f32_e32 v139, v188, v139                             // 00000000826C: 0B1717BC
	v_mul_f32_e32 v140, v188, v140                             // 000000008270: 0B1919BC
	v_mul_f32_e32 v141, v188, v141                             // 000000008274: 0B1B1BBC
	v_mul_f32_e32 v142, v188, v142                             // 000000008278: 0B1D1DBC
	v_mul_f32_e32 v143, v188, v143                             // 00000000827C: 0B1F1FBC
	v_mul_f32_e32 v144, v188, v144                             // 000000008280: 0B2121BC
	v_mul_f32_e32 v145, v188, v145                             // 000000008284: 0B2323BC
	v_mul_f32_e32 v146, v188, v146                             // 000000008288: 0B2525BC
	v_mul_f32_e32 v147, v188, v147                             // 00000000828C: 0B2727BC
	v_mul_f32_e32 v148, v188, v148                             // 000000008290: 0B2929BC
	v_mul_f32_e32 v149, v188, v149                             // 000000008294: 0B2B2BBC
	v_mul_f32_e32 v150, v188, v150                             // 000000008298: 0B2D2DBC
	v_mul_f32_e32 v151, v188, v151                             // 00000000829C: 0B2F2FBC
	v_mul_f32_e32 v152, v188, v152                             // 0000000082A0: 0B3131BC
	v_mul_f32_e32 v153, v188, v153                             // 0000000082A4: 0B3333BC
	v_mul_f32_e32 v154, v188, v154                             // 0000000082A8: 0B3535BC
	v_mul_f32_e32 v155, v188, v155                             // 0000000082AC: 0B3737BC
	v_mul_f32_e32 v156, v188, v156                             // 0000000082B0: 0B3939BC
	v_mul_f32_e32 v157, v188, v157                             // 0000000082B4: 0B3B3BBC
	v_mul_f32_e32 v158, v188, v158                             // 0000000082B8: 0B3D3DBC
	v_mul_f32_e32 v159, v188, v159                             // 0000000082BC: 0B3F3FBC
	v_mul_f32_e32 v160, v188, v160                             // 0000000082C0: 0B4141BC
	v_mul_f32_e32 v161, v188, v161                             // 0000000082C4: 0B4343BC
	v_mul_f32_e32 v162, v188, v162                             // 0000000082C8: 0B4545BC
	v_mul_f32_e32 v163, v188, v163                             // 0000000082CC: 0B4747BC
	v_mul_f32_e32 v164, v188, v164                             // 0000000082D0: 0B4949BC
	v_mul_f32_e32 v165, v188, v165                             // 0000000082D4: 0B4B4BBC
	v_mul_f32_e32 v166, v188, v166                             // 0000000082D8: 0B4D4DBC
	v_mul_f32_e32 v167, v188, v167                             // 0000000082DC: 0B4F4FBC
	v_mul_f32_e32 v168, v188, v168                             // 0000000082E0: 0B5151BC
	v_mul_f32_e32 v169, v188, v169                             // 0000000082E4: 0B5353BC
	v_mul_f32_e32 v170, v188, v170                             // 0000000082E8: 0B5555BC
	v_mul_f32_e32 v171, v188, v171                             // 0000000082EC: 0B5757BC
	v_mul_f32_e32 v172, v188, v172                             // 0000000082F0: 0B5959BC
	v_mul_f32_e32 v173, v188, v173                             // 0000000082F4: 0B5B5BBC
	v_mul_f32_e32 v174, v188, v174                             // 0000000082F8: 0B5D5DBC
	v_mul_f32_e32 v175, v188, v175                             // 0000000082FC: 0B5F5FBC
	v_mul_f32_e32 v176, v188, v176                             // 000000008300: 0B6161BC
	v_mul_f32_e32 v177, v188, v177                             // 000000008304: 0B6363BC
	v_mul_f32_e32 v178, v188, v178                             // 000000008308: 0B6565BC
	v_mul_f32_e32 v179, v188, v179                             // 00000000830C: 0B6767BC
	v_mov_b32_e32 v189, v188                                   // 000000008310: 7F7A03BC
	s_barrier                                                  // 000000008314: BF8A0000
	v_cvt_pk_fp8_f32 v52, v52, v53                             // 000000008318: D2A20034 00026B34
	v_cvt_pk_fp8_f32 v52, v54, v55 op_sel:[0,0,1]              // 000000008320: D2A24034 00026F36
	v_cvt_pk_fp8_f32 v53, v56, v57                             // 000000008328: D2A20035 00027338
	v_cvt_pk_fp8_f32 v53, v58, v59 op_sel:[0,0,1]              // 000000008330: D2A24035 0002773A
	v_cvt_pk_fp8_f32 v54, v60, v61                             // 000000008338: D2A20036 00027B3C
	v_cvt_pk_fp8_f32 v54, v62, v63 op_sel:[0,0,1]              // 000000008340: D2A24036 00027F3E
	v_cvt_pk_fp8_f32 v55, v64, v65                             // 000000008348: D2A20037 00028340
	v_cvt_pk_fp8_f32 v55, v66, v67 op_sel:[0,0,1]              // 000000008350: D2A24037 00028742
	v_cvt_pk_fp8_f32 v56, v68, v69                             // 000000008358: D2A20038 00028B44
	v_cvt_pk_fp8_f32 v56, v70, v71 op_sel:[0,0,1]              // 000000008360: D2A24038 00028F46
	v_cvt_pk_fp8_f32 v57, v72, v73                             // 000000008368: D2A20039 00029348
	v_cvt_pk_fp8_f32 v57, v74, v75 op_sel:[0,0,1]              // 000000008370: D2A24039 0002974A
	v_cvt_pk_fp8_f32 v58, v76, v77                             // 000000008378: D2A2003A 00029B4C
	v_cvt_pk_fp8_f32 v58, v78, v79 op_sel:[0,0,1]              // 000000008380: D2A2403A 00029F4E
	v_cvt_pk_fp8_f32 v59, v80, v81                             // 000000008388: D2A2003B 0002A350
	v_cvt_pk_fp8_f32 v59, v82, v83 op_sel:[0,0,1]              // 000000008390: D2A2403B 0002A752
	v_cvt_pk_fp8_f32 v60, v84, v85                             // 000000008398: D2A2003C 0002AB54
	v_cvt_pk_fp8_f32 v60, v86, v87 op_sel:[0,0,1]              // 0000000083A0: D2A2403C 0002AF56
	v_cvt_pk_fp8_f32 v61, v88, v89                             // 0000000083A8: D2A2003D 0002B358
	v_cvt_pk_fp8_f32 v61, v90, v91 op_sel:[0,0,1]              // 0000000083B0: D2A2403D 0002B75A
	v_cvt_pk_fp8_f32 v62, v92, v93                             // 0000000083B8: D2A2003E 0002BB5C
	v_cvt_pk_fp8_f32 v62, v94, v95 op_sel:[0,0,1]              // 0000000083C0: D2A2403E 0002BF5E
	v_cvt_pk_fp8_f32 v63, v96, v97                             // 0000000083C8: D2A2003F 0002C360
	v_cvt_pk_fp8_f32 v63, v98, v99 op_sel:[0,0,1]              // 0000000083D0: D2A2403F 0002C762
	v_cvt_pk_fp8_f32 v64, v100, v101                           // 0000000083D8: D2A20040 0002CB64
	v_cvt_pk_fp8_f32 v64, v102, v103 op_sel:[0,0,1]            // 0000000083E0: D2A24040 0002CF66
	v_cvt_pk_fp8_f32 v65, v104, v105                           // 0000000083E8: D2A20041 0002D368
	v_cvt_pk_fp8_f32 v65, v106, v107 op_sel:[0,0,1]            // 0000000083F0: D2A24041 0002D76A
	v_cvt_pk_fp8_f32 v66, v108, v109                           // 0000000083F8: D2A20042 0002DB6C
	v_cvt_pk_fp8_f32 v66, v110, v111 op_sel:[0,0,1]            // 000000008400: D2A24042 0002DF6E
	v_cvt_pk_fp8_f32 v67, v112, v113                           // 000000008408: D2A20043 0002E370
	v_cvt_pk_fp8_f32 v67, v114, v115 op_sel:[0,0,1]            // 000000008410: D2A24043 0002E772
	s_barrier                                                  // 000000008418: BF8A0000
	s_waitcnt vmcnt(0)                                         // 00000000841C: BF8C0F70
	s_waitcnt lgkmcnt(8)                                       // 000000008420: BF8CC87F
	s_setprio 1                                                // 000000008424: BF8F0001
	s_barrier                                                  // 000000008428: BF8A0000
	v_mfma_f32_32x32x64_f8f6f4 v[116:131], v[20:27], v[52:59], v[116:131]// 00000000842C: D3AE0074 05D26914
	ds_read_b64_tr_b8 v[36:37], v219 offset:16672              // 000000008434: D9C44120 240000DB
	ds_read_b64_tr_b8 v[38:39], v219 offset:16928              // 00000000843C: D9C44220 260000DB
	ds_read_b64_tr_b8 v[40:41], v219 offset:17184              // 000000008444: D9C44320 280000DB
	ds_read_b64_tr_b8 v[42:43], v219 offset:17440              // 00000000844C: D9C44420 2A0000DB
	s_waitcnt lgkmcnt(8)                                       // 000000008454: BF8CC87F
	v_mfma_f32_32x32x64_f8f6f4 v[116:131], v[28:35], v[60:67], v[116:131]// 000000008458: D3AE0074 05D2791C
	ds_read_b64_tr_b8 v[44:45], v219 offset:24992              // 000000008460: D9C461A0 2C0000DB
	ds_read_b64_tr_b8 v[46:47], v219 offset:25248              // 000000008468: D9C462A0 2E0000DB
	ds_read_b64_tr_b8 v[48:49], v219 offset:25504              // 000000008470: D9C463A0 300000DB
	ds_read_b64_tr_b8 v[50:51], v219 offset:25760              // 000000008478: D9C464A0 320000DB
	s_waitcnt lgkmcnt(8)                                       // 000000008480: BF8CC87F
	v_mfma_f32_32x32x64_f8f6f4 v[132:147], v[36:43], v[52:59], v[132:147]// 000000008484: D3AE0084 06126924
	ds_read_b64_tr_b8 v[20:21], v219 offset:16704              // 00000000848C: D9C44140 140000DB
	ds_read_b64_tr_b8 v[22:23], v219 offset:16960              // 000000008494: D9C44240 160000DB
	ds_read_b64_tr_b8 v[24:25], v219 offset:17216              // 00000000849C: D9C44340 180000DB
	ds_read_b64_tr_b8 v[26:27], v219 offset:17472              // 0000000084A4: D9C44440 1A0000DB
	s_waitcnt lgkmcnt(8)                                       // 0000000084AC: BF8CC87F
	v_mfma_f32_32x32x64_f8f6f4 v[132:147], v[44:51], v[60:67], v[132:147]// 0000000084B0: D3AE0084 0612792C
	ds_read_b64_tr_b8 v[28:29], v219 offset:25024              // 0000000084B8: D9C461C0 1C0000DB
	ds_read_b64_tr_b8 v[30:31], v219 offset:25280              // 0000000084C0: D9C462C0 1E0000DB
	ds_read_b64_tr_b8 v[32:33], v219 offset:25536              // 0000000084C8: D9C463C0 200000DB
	ds_read_b64_tr_b8 v[34:35], v219 offset:25792              // 0000000084D0: D9C464C0 220000DB
	s_waitcnt lgkmcnt(8)                                       // 0000000084D8: BF8CC87F
	v_mfma_f32_32x32x64_f8f6f4 v[148:163], v[20:27], v[52:59], v[148:163]// 0000000084DC: D3AE0094 06526914
	ds_read_b64_tr_b8 v[36:37], v219 offset:16736              // 0000000084E4: D9C44160 240000DB
	ds_read_b64_tr_b8 v[38:39], v219 offset:16992              // 0000000084EC: D9C44260 260000DB
	ds_read_b64_tr_b8 v[40:41], v219 offset:17248              // 0000000084F4: D9C44360 280000DB
	ds_read_b64_tr_b8 v[42:43], v219 offset:17504              // 0000000084FC: D9C44460 2A0000DB
	s_waitcnt lgkmcnt(8)                                       // 000000008504: BF8CC87F
	v_mfma_f32_32x32x64_f8f6f4 v[148:163], v[28:35], v[60:67], v[148:163]// 000000008508: D3AE0094 0652791C
	ds_read_b64_tr_b8 v[44:45], v219 offset:25056              // 000000008510: D9C461E0 2C0000DB
	ds_read_b64_tr_b8 v[46:47], v219 offset:25312              // 000000008518: D9C462E0 2E0000DB
	ds_read_b64_tr_b8 v[48:49], v219 offset:25568              // 000000008520: D9C463E0 300000DB
	ds_read_b64_tr_b8 v[50:51], v219 offset:25824              // 000000008528: D9C464E0 320000DB
	s_waitcnt lgkmcnt(8)                                       // 000000008530: BF8CC87F
	v_mfma_f32_32x32x64_f8f6f4 v[164:179], v[36:43], v[52:59], v[164:179]// 000000008534: D3AE00A4 06926924
	ds_read_b128 v[20:23], v218                                // 00000000853C: D9FE0000 140000DA
	ds_read_b128 v[24:27], v218 offset:32                      // 000000008544: D9FE0020 180000DA
	s_waitcnt lgkmcnt(6)                                       // 00000000854C: BF8CC67F
	v_mfma_f32_32x32x64_f8f6f4 v[164:179], v[44:51], v[60:67], v[164:179]// 000000008550: D3AE00A4 0692792C
	ds_read_b128 v[28:31], v218 offset:4160                    // 000000008558: D9FE1040 1C0000DA
	ds_read_b128 v[32:35], v218 offset:4192                    // 000000008560: D9FE1060 200000DA
	s_addk_i32 s68, 0x80                                       // 000000008568: B7440080
	s_branch label_2DF4                                        // 00000000856C: BF82F921

0000000000008570 <label_4970>:
	s_cmp_lt_i32 s68, s43                                      // 000000008570: BF042B44
	s_cbranch_scc0 label_6534                                  // 000000008574: BF8406EF
	s_waitcnt lgkmcnt(2)                                       // 000000008578: BF8CC27F
	v_mfma_f32_32x32x64_f8f6f4 v[52:67], v[20:27], v[4:11], 0  // 00000000857C: D3AE0034 02020914
	v_mul_i32_i24_dpp v184, v182, v223 quad_perm:[0,0,0,0] row_mask:0xf bank_mask:0xf// 000000008584: 0D71BEFA FF0000B6
	v_mul_i32_i24_dpp v185, v182, v223 quad_perm:[1,1,1,1] row_mask:0xf bank_mask:0xf// 00000000858C: 0D73BEFA FF0055B6
	v_mul_i32_i24_dpp v186, v182, v223 quad_perm:[2,2,2,2] row_mask:0xf bank_mask:0xf// 000000008594: 0D75BEFA FF00AAB6
	v_mul_i32_i24_dpp v187, v182, v223 quad_perm:[3,3,3,3] row_mask:0xf bank_mask:0xf// 00000000859C: 0D77BEFA FF00FFB6
	v_add_u32_e32 v214, v213, v184                             // 0000000085A4: 69AD71D5
	v_add_u32_e32 v215, v213, v185                             // 0000000085A8: 69AF73D5
	v_add_u32_e32 v216, v213, v186                             // 0000000085AC: 69B175D5
	v_add_u32_e32 v217, v213, v187                             // 0000000085B0: 69B377D5
	ds_read_b128 v[36:39], v218 offset:512                     // 0000000085B4: D9FE0200 240000DA
	ds_read_b128 v[40:43], v218 offset:544                     // 0000000085BC: D9FE0220 280000DA
	s_waitcnt lgkmcnt(2)                                       // 0000000085C4: BF8CC27F
	v_mfma_f32_32x32x64_f8f6f4 v[52:67], v[28:35], v[12:19], v[52:67]// 0000000085C8: D3AE0034 04D2191C
	s_add_u32 m0, s72, 0x4100                                  // 0000000085D0: 807CFF48 00004100
	buffer_load_dwordx4 v214, s[16:19], 0 offen lds            // 0000000085D8: E05D1000 800400D6
	ds_read_b128 v[44:47], v218 offset:4672                    // 0000000085E0: D9FE1240 2C0000DA
	ds_read_b128 v[48:51], v218 offset:4704                    // 0000000085E8: D9FE1260 300000DA
	s_waitcnt lgkmcnt(2)                                       // 0000000085F0: BF8CC27F
	v_mfma_f32_32x32x64_f8f6f4 v[68:83], v[36:43], v[4:11], 0  // 0000000085F4: D3AE0044 02020924
	s_add_u32 m0, s72, 0x4510                                  // 0000000085FC: 807CFF48 00004510
	buffer_load_dwordx4 v215, s[16:19], 0 offen lds            // 000000008604: E05D1000 800400D7
	ds_read_b128 v[20:23], v218 offset:8320                    // 00000000860C: D9FE2080 140000DA
	ds_read_b128 v[24:27], v218 offset:8352                    // 000000008614: D9FE20A0 180000DA
	s_waitcnt lgkmcnt(2)                                       // 00000000861C: BF8CC27F
	v_mfma_f32_32x32x64_f8f6f4 v[68:83], v[44:51], v[12:19], v[68:83]// 000000008620: D3AE0044 0512192C
	s_add_u32 m0, s72, 0x4920                                  // 000000008628: 807CFF48 00004920
	buffer_load_dwordx4 v216, s[16:19], 0 offen lds            // 000000008630: E05D1000 800400D8
	ds_read_b128 v[28:31], v218 offset:12480                   // 000000008638: D9FE30C0 1C0000DA
	ds_read_b128 v[32:35], v218 offset:12512                   // 000000008640: D9FE30E0 200000DA
	s_waitcnt lgkmcnt(2)                                       // 000000008648: BF8CC27F
	v_mfma_f32_32x32x64_f8f6f4 v[84:99], v[20:27], v[4:11], 0  // 00000000864C: D3AE0054 02020914
	s_add_u32 m0, s72, 0x4d30                                  // 000000008654: 807CFF48 00004D30
	buffer_load_dwordx4 v217, s[16:19], 0 offen lds            // 00000000865C: E05D1000 800400D9
	ds_read_b128 v[36:39], v218 offset:8832                    // 000000008664: D9FE2280 240000DA
	ds_read_b128 v[40:43], v218 offset:8864                    // 00000000866C: D9FE22A0 280000DA
	s_waitcnt lgkmcnt(2)                                       // 000000008674: BF8CC27F
	v_mfma_f32_32x32x64_f8f6f4 v[84:99], v[28:35], v[12:19], v[84:99]// 000000008678: D3AE0054 0552191C
	v_lshrrev_b32_e32 v181, 2, v209                            // 000000008680: 216BA282
	ds_read_b128 v[44:47], v218 offset:12992                   // 000000008684: D9FE32C0 2C0000DA
	ds_read_b128 v[48:51], v218 offset:13024                   // 00000000868C: D9FE32E0 300000DA
	s_waitcnt lgkmcnt(2)                                       // 000000008694: BF8CC27F
	v_mfma_f32_32x32x64_f8f6f4 v[100:115], v[36:43], v[4:11], 0// 000000008698: D3AE0064 02020924
	v_add_u32_e32 v184, 0x200, v209                            // 0000000086A0: 6971A2FF 00000200
	v_lshrrev_b32_e32 v182, 2, v184                            // 0000000086A8: 216D7082
	v_add_u32_e32 v209, 0x400, v209                            // 0000000086AC: 69A3A2FF 00000400
	ds_read_b64_tr_b8 v[20:21], v219                           // 0000000086B4: D9C40000 140000DB
	ds_read_b64_tr_b8 v[22:23], v219 offset:256                // 0000000086BC: D9C40100 160000DB
	ds_read_b64_tr_b8 v[24:25], v219 offset:512                // 0000000086C4: D9C40200 180000DB
	ds_read_b64_tr_b8 v[26:27], v219 offset:768                // 0000000086CC: D9C40300 1A0000DB
	s_waitcnt lgkmcnt(4)                                       // 0000000086D4: BF8CC47F
	v_mfma_f32_32x32x64_f8f6f4 v[100:115], v[44:51], v[12:19], v[100:115]// 0000000086D8: D3AE0064 0592192C
	ds_read_b64_tr_b8 v[28:29], v219 offset:8320               // 0000000086E0: D9C42080 1C0000DB
	ds_read_b64_tr_b8 v[30:31], v219 offset:8576               // 0000000086E8: D9C42180 1E0000DB
	ds_read_b64_tr_b8 v[32:33], v219 offset:8832               // 0000000086F0: D9C42280 200000DB
	ds_read_b64_tr_b8 v[34:35], v219 offset:9088               // 0000000086F8: D9C42380 220000DB
	s_nop 5                                                    // 000000008700: BF800005
	s_barrier                                                  // 000000008704: BF8A0000
	s_setprio 0                                                // 000000008708: BF8F0000
	s_barrier                                                  // 00000000870C: BF8A0000
	v_add_u32_e32 v184, s68, v195                              // 000000008710: 69718644
	v_add_u32_e32 v185, 0, v184                                // 000000008714: 69737080
	v_cmp_lt_i32_e32 vcc, v185, v194                           // 000000008718: 7D8385B9
	s_nop 0                                                    // 00000000871C: BF800000
	v_cndmask_b32_e32 v52, v197, v52, vcc                      // 000000008720: 006869C5
	v_add_u32_e32 v185, 1, v184                                // 000000008724: 69737081
	v_cmp_lt_i32_e32 vcc, v185, v194                           // 000000008728: 7D8385B9
	s_nop 0                                                    // 00000000872C: BF800000
	v_cndmask_b32_e32 v53, v197, v53, vcc                      // 000000008730: 006A6BC5
	v_add_u32_e32 v185, 2, v184                                // 000000008734: 69737082
	v_cmp_lt_i32_e32 vcc, v185, v194                           // 000000008738: 7D8385B9
	s_nop 0                                                    // 00000000873C: BF800000
	v_cndmask_b32_e32 v54, v197, v54, vcc                      // 000000008740: 006C6DC5
	v_add_u32_e32 v185, 3, v184                                // 000000008744: 69737083
	v_cmp_lt_i32_e32 vcc, v185, v194                           // 000000008748: 7D8385B9
	s_nop 0                                                    // 00000000874C: BF800000
	v_cndmask_b32_e32 v55, v197, v55, vcc                      // 000000008750: 006E6FC5
	v_add_u32_e32 v185, 8, v184                                // 000000008754: 69737088
	v_cmp_lt_i32_e32 vcc, v185, v194                           // 000000008758: 7D8385B9
	s_nop 0                                                    // 00000000875C: BF800000
	v_cndmask_b32_e32 v56, v197, v56, vcc                      // 000000008760: 007071C5
	v_add_u32_e32 v185, 9, v184                                // 000000008764: 69737089
	v_cmp_lt_i32_e32 vcc, v185, v194                           // 000000008768: 7D8385B9
	s_nop 0                                                    // 00000000876C: BF800000
	v_cndmask_b32_e32 v57, v197, v57, vcc                      // 000000008770: 007273C5
	v_add_u32_e32 v185, 10, v184                               // 000000008774: 6973708A
	v_cmp_lt_i32_e32 vcc, v185, v194                           // 000000008778: 7D8385B9
	s_nop 0                                                    // 00000000877C: BF800000
	v_cndmask_b32_e32 v58, v197, v58, vcc                      // 000000008780: 007475C5
	v_add_u32_e32 v185, 11, v184                               // 000000008784: 6973708B
	v_cmp_lt_i32_e32 vcc, v185, v194                           // 000000008788: 7D8385B9
	s_nop 0                                                    // 00000000878C: BF800000
	v_cndmask_b32_e32 v59, v197, v59, vcc                      // 000000008790: 007677C5
	v_add_u32_e32 v185, 16, v184                               // 000000008794: 69737090
	v_cmp_lt_i32_e32 vcc, v185, v194                           // 000000008798: 7D8385B9
	s_nop 0                                                    // 00000000879C: BF800000
	v_cndmask_b32_e32 v60, v197, v60, vcc                      // 0000000087A0: 007879C5
	v_add_u32_e32 v185, 17, v184                               // 0000000087A4: 69737091
	v_cmp_lt_i32_e32 vcc, v185, v194                           // 0000000087A8: 7D8385B9
	s_nop 0                                                    // 0000000087AC: BF800000
	v_cndmask_b32_e32 v61, v197, v61, vcc                      // 0000000087B0: 007A7BC5
	v_add_u32_e32 v185, 18, v184                               // 0000000087B4: 69737092
	v_cmp_lt_i32_e32 vcc, v185, v194                           // 0000000087B8: 7D8385B9
	s_nop 0                                                    // 0000000087BC: BF800000
	v_cndmask_b32_e32 v62, v197, v62, vcc                      // 0000000087C0: 007C7DC5
	v_add_u32_e32 v185, 19, v184                               // 0000000087C4: 69737093
	v_cmp_lt_i32_e32 vcc, v185, v194                           // 0000000087C8: 7D8385B9
	s_nop 0                                                    // 0000000087CC: BF800000
	v_cndmask_b32_e32 v63, v197, v63, vcc                      // 0000000087D0: 007E7FC5
	v_add_u32_e32 v185, 24, v184                               // 0000000087D4: 69737098
	v_cmp_lt_i32_e32 vcc, v185, v194                           // 0000000087D8: 7D8385B9
	s_nop 0                                                    // 0000000087DC: BF800000
	v_cndmask_b32_e32 v64, v197, v64, vcc                      // 0000000087E0: 008081C5
	v_add_u32_e32 v185, 25, v184                               // 0000000087E4: 69737099
	v_cmp_lt_i32_e32 vcc, v185, v194                           // 0000000087E8: 7D8385B9
	s_nop 0                                                    // 0000000087EC: BF800000
	v_cndmask_b32_e32 v65, v197, v65, vcc                      // 0000000087F0: 008283C5
	v_add_u32_e32 v185, 26, v184                               // 0000000087F4: 6973709A
	v_cmp_lt_i32_e32 vcc, v185, v194                           // 0000000087F8: 7D8385B9
	s_nop 0                                                    // 0000000087FC: BF800000
	v_cndmask_b32_e32 v66, v197, v66, vcc                      // 000000008800: 008485C5
	v_add_u32_e32 v185, 27, v184                               // 000000008804: 6973709B
	v_cmp_lt_i32_e32 vcc, v185, v194                           // 000000008808: 7D8385B9
	s_nop 0                                                    // 00000000880C: BF800000
	v_cndmask_b32_e32 v67, v197, v67, vcc                      // 000000008810: 008687C5
	v_add_u32_e32 v185, 32, v184                               // 000000008814: 697370A0
	v_cmp_lt_i32_e32 vcc, v185, v194                           // 000000008818: 7D8385B9
	s_nop 0                                                    // 00000000881C: BF800000
	v_cndmask_b32_e32 v68, v197, v68, vcc                      // 000000008820: 008889C5
	v_add_u32_e32 v185, 33, v184                               // 000000008824: 697370A1
	v_cmp_lt_i32_e32 vcc, v185, v194                           // 000000008828: 7D8385B9
	s_nop 0                                                    // 00000000882C: BF800000
	v_cndmask_b32_e32 v69, v197, v69, vcc                      // 000000008830: 008A8BC5
	v_add_u32_e32 v185, 34, v184                               // 000000008834: 697370A2
	v_cmp_lt_i32_e32 vcc, v185, v194                           // 000000008838: 7D8385B9
	s_nop 0                                                    // 00000000883C: BF800000
	v_cndmask_b32_e32 v70, v197, v70, vcc                      // 000000008840: 008C8DC5
	v_add_u32_e32 v185, 35, v184                               // 000000008844: 697370A3
	v_cmp_lt_i32_e32 vcc, v185, v194                           // 000000008848: 7D8385B9
	s_nop 0                                                    // 00000000884C: BF800000
	v_cndmask_b32_e32 v71, v197, v71, vcc                      // 000000008850: 008E8FC5
	v_add_u32_e32 v185, 40, v184                               // 000000008854: 697370A8
	v_cmp_lt_i32_e32 vcc, v185, v194                           // 000000008858: 7D8385B9
	s_nop 0                                                    // 00000000885C: BF800000
	v_cndmask_b32_e32 v72, v197, v72, vcc                      // 000000008860: 009091C5
	v_add_u32_e32 v185, 41, v184                               // 000000008864: 697370A9
	v_cmp_lt_i32_e32 vcc, v185, v194                           // 000000008868: 7D8385B9
	s_nop 0                                                    // 00000000886C: BF800000
	v_cndmask_b32_e32 v73, v197, v73, vcc                      // 000000008870: 009293C5
	v_add_u32_e32 v185, 42, v184                               // 000000008874: 697370AA
	v_cmp_lt_i32_e32 vcc, v185, v194                           // 000000008878: 7D8385B9
	s_nop 0                                                    // 00000000887C: BF800000
	v_cndmask_b32_e32 v74, v197, v74, vcc                      // 000000008880: 009495C5
	v_add_u32_e32 v185, 43, v184                               // 000000008884: 697370AB
	v_cmp_lt_i32_e32 vcc, v185, v194                           // 000000008888: 7D8385B9
	s_nop 0                                                    // 00000000888C: BF800000
	v_cndmask_b32_e32 v75, v197, v75, vcc                      // 000000008890: 009697C5
	v_add_u32_e32 v185, 48, v184                               // 000000008894: 697370B0
	v_cmp_lt_i32_e32 vcc, v185, v194                           // 000000008898: 7D8385B9
	s_nop 0                                                    // 00000000889C: BF800000
	v_cndmask_b32_e32 v76, v197, v76, vcc                      // 0000000088A0: 009899C5
	v_add_u32_e32 v185, 49, v184                               // 0000000088A4: 697370B1
	v_cmp_lt_i32_e32 vcc, v185, v194                           // 0000000088A8: 7D8385B9
	s_nop 0                                                    // 0000000088AC: BF800000
	v_cndmask_b32_e32 v77, v197, v77, vcc                      // 0000000088B0: 009A9BC5
	v_add_u32_e32 v185, 50, v184                               // 0000000088B4: 697370B2
	v_cmp_lt_i32_e32 vcc, v185, v194                           // 0000000088B8: 7D8385B9
	s_nop 0                                                    // 0000000088BC: BF800000
	v_cndmask_b32_e32 v78, v197, v78, vcc                      // 0000000088C0: 009C9DC5
	v_add_u32_e32 v185, 51, v184                               // 0000000088C4: 697370B3
	v_cmp_lt_i32_e32 vcc, v185, v194                           // 0000000088C8: 7D8385B9
	s_nop 0                                                    // 0000000088CC: BF800000
	v_cndmask_b32_e32 v79, v197, v79, vcc                      // 0000000088D0: 009E9FC5
	v_add_u32_e32 v185, 56, v184                               // 0000000088D4: 697370B8
	v_cmp_lt_i32_e32 vcc, v185, v194                           // 0000000088D8: 7D8385B9
	s_nop 0                                                    // 0000000088DC: BF800000
	v_cndmask_b32_e32 v80, v197, v80, vcc                      // 0000000088E0: 00A0A1C5
	v_add_u32_e32 v185, 57, v184                               // 0000000088E4: 697370B9
	v_cmp_lt_i32_e32 vcc, v185, v194                           // 0000000088E8: 7D8385B9
	s_nop 0                                                    // 0000000088EC: BF800000
	v_cndmask_b32_e32 v81, v197, v81, vcc                      // 0000000088F0: 00A2A3C5
	v_add_u32_e32 v185, 58, v184                               // 0000000088F4: 697370BA
	v_cmp_lt_i32_e32 vcc, v185, v194                           // 0000000088F8: 7D8385B9
	s_nop 0                                                    // 0000000088FC: BF800000
	v_cndmask_b32_e32 v82, v197, v82, vcc                      // 000000008900: 00A4A5C5
	v_add_u32_e32 v185, 59, v184                               // 000000008904: 697370BB
	v_cmp_lt_i32_e32 vcc, v185, v194                           // 000000008908: 7D8385B9
	s_nop 0                                                    // 00000000890C: BF800000
	v_cndmask_b32_e32 v83, v197, v83, vcc                      // 000000008910: 00A6A7C5
	v_add_u32_e32 v185, 64, v184                               // 000000008914: 697370C0
	v_cmp_lt_i32_e32 vcc, v185, v194                           // 000000008918: 7D8385B9
	s_nop 0                                                    // 00000000891C: BF800000
	v_cndmask_b32_e32 v84, v197, v84, vcc                      // 000000008920: 00A8A9C5
	v_add_u32_e32 v185, 0x41, v184                             // 000000008924: 697370FF 00000041
	v_cmp_lt_i32_e32 vcc, v185, v194                           // 00000000892C: 7D8385B9
	s_nop 0                                                    // 000000008930: BF800000
	v_cndmask_b32_e32 v85, v197, v85, vcc                      // 000000008934: 00AAABC5
	v_add_u32_e32 v185, 0x42, v184                             // 000000008938: 697370FF 00000042
	v_cmp_lt_i32_e32 vcc, v185, v194                           // 000000008940: 7D8385B9
	s_nop 0                                                    // 000000008944: BF800000
	v_cndmask_b32_e32 v86, v197, v86, vcc                      // 000000008948: 00ACADC5
	v_add_u32_e32 v185, 0x43, v184                             // 00000000894C: 697370FF 00000043
	v_cmp_lt_i32_e32 vcc, v185, v194                           // 000000008954: 7D8385B9
	s_nop 0                                                    // 000000008958: BF800000
	v_cndmask_b32_e32 v87, v197, v87, vcc                      // 00000000895C: 00AEAFC5
	v_add_u32_e32 v185, 0x48, v184                             // 000000008960: 697370FF 00000048
	v_cmp_lt_i32_e32 vcc, v185, v194                           // 000000008968: 7D8385B9
	s_nop 0                                                    // 00000000896C: BF800000
	v_cndmask_b32_e32 v88, v197, v88, vcc                      // 000000008970: 00B0B1C5
	v_add_u32_e32 v185, 0x49, v184                             // 000000008974: 697370FF 00000049
	v_cmp_lt_i32_e32 vcc, v185, v194                           // 00000000897C: 7D8385B9
	s_nop 0                                                    // 000000008980: BF800000
	v_cndmask_b32_e32 v89, v197, v89, vcc                      // 000000008984: 00B2B3C5
	v_add_u32_e32 v185, 0x4a, v184                             // 000000008988: 697370FF 0000004A
	v_cmp_lt_i32_e32 vcc, v185, v194                           // 000000008990: 7D8385B9
	s_nop 0                                                    // 000000008994: BF800000
	v_cndmask_b32_e32 v90, v197, v90, vcc                      // 000000008998: 00B4B5C5
	v_add_u32_e32 v185, 0x4b, v184                             // 00000000899C: 697370FF 0000004B
	v_cmp_lt_i32_e32 vcc, v185, v194                           // 0000000089A4: 7D8385B9
	s_nop 0                                                    // 0000000089A8: BF800000
	v_cndmask_b32_e32 v91, v197, v91, vcc                      // 0000000089AC: 00B6B7C5
	v_add_u32_e32 v185, 0x50, v184                             // 0000000089B0: 697370FF 00000050
	v_cmp_lt_i32_e32 vcc, v185, v194                           // 0000000089B8: 7D8385B9
	s_nop 0                                                    // 0000000089BC: BF800000
	v_cndmask_b32_e32 v92, v197, v92, vcc                      // 0000000089C0: 00B8B9C5
	v_add_u32_e32 v185, 0x51, v184                             // 0000000089C4: 697370FF 00000051
	v_cmp_lt_i32_e32 vcc, v185, v194                           // 0000000089CC: 7D8385B9
	s_nop 0                                                    // 0000000089D0: BF800000
	v_cndmask_b32_e32 v93, v197, v93, vcc                      // 0000000089D4: 00BABBC5
	v_add_u32_e32 v185, 0x52, v184                             // 0000000089D8: 697370FF 00000052
	v_cmp_lt_i32_e32 vcc, v185, v194                           // 0000000089E0: 7D8385B9
	s_nop 0                                                    // 0000000089E4: BF800000
	v_cndmask_b32_e32 v94, v197, v94, vcc                      // 0000000089E8: 00BCBDC5
	v_add_u32_e32 v185, 0x53, v184                             // 0000000089EC: 697370FF 00000053
	v_cmp_lt_i32_e32 vcc, v185, v194                           // 0000000089F4: 7D8385B9
	s_nop 0                                                    // 0000000089F8: BF800000
	v_cndmask_b32_e32 v95, v197, v95, vcc                      // 0000000089FC: 00BEBFC5
	v_add_u32_e32 v185, 0x58, v184                             // 000000008A00: 697370FF 00000058
	v_cmp_lt_i32_e32 vcc, v185, v194                           // 000000008A08: 7D8385B9
	s_nop 0                                                    // 000000008A0C: BF800000
	v_cndmask_b32_e32 v96, v197, v96, vcc                      // 000000008A10: 00C0C1C5
	v_add_u32_e32 v185, 0x59, v184                             // 000000008A14: 697370FF 00000059
	v_cmp_lt_i32_e32 vcc, v185, v194                           // 000000008A1C: 7D8385B9
	s_nop 0                                                    // 000000008A20: BF800000
	v_cndmask_b32_e32 v97, v197, v97, vcc                      // 000000008A24: 00C2C3C5
	v_add_u32_e32 v185, 0x5a, v184                             // 000000008A28: 697370FF 0000005A
	v_cmp_lt_i32_e32 vcc, v185, v194                           // 000000008A30: 7D8385B9
	s_nop 0                                                    // 000000008A34: BF800000
	v_cndmask_b32_e32 v98, v197, v98, vcc                      // 000000008A38: 00C4C5C5
	v_add_u32_e32 v185, 0x5b, v184                             // 000000008A3C: 697370FF 0000005B
	v_cmp_lt_i32_e32 vcc, v185, v194                           // 000000008A44: 7D8385B9
	s_nop 0                                                    // 000000008A48: BF800000
	v_cndmask_b32_e32 v99, v197, v99, vcc                      // 000000008A4C: 00C6C7C5
	v_add_u32_e32 v185, 0x60, v184                             // 000000008A50: 697370FF 00000060
	v_cmp_lt_i32_e32 vcc, v185, v194                           // 000000008A58: 7D8385B9
	s_nop 0                                                    // 000000008A5C: BF800000
	v_cndmask_b32_e32 v100, v197, v100, vcc                    // 000000008A60: 00C8C9C5
	v_add_u32_e32 v185, 0x61, v184                             // 000000008A64: 697370FF 00000061
	v_cmp_lt_i32_e32 vcc, v185, v194                           // 000000008A6C: 7D8385B9
	s_nop 0                                                    // 000000008A70: BF800000
	v_cndmask_b32_e32 v101, v197, v101, vcc                    // 000000008A74: 00CACBC5
	v_add_u32_e32 v185, 0x62, v184                             // 000000008A78: 697370FF 00000062
	v_cmp_lt_i32_e32 vcc, v185, v194                           // 000000008A80: 7D8385B9
	s_nop 0                                                    // 000000008A84: BF800000
	v_cndmask_b32_e32 v102, v197, v102, vcc                    // 000000008A88: 00CCCDC5
	v_add_u32_e32 v185, 0x63, v184                             // 000000008A8C: 697370FF 00000063
	v_cmp_lt_i32_e32 vcc, v185, v194                           // 000000008A94: 7D8385B9
	s_nop 0                                                    // 000000008A98: BF800000
	v_cndmask_b32_e32 v103, v197, v103, vcc                    // 000000008A9C: 00CECFC5
	v_add_u32_e32 v185, 0x68, v184                             // 000000008AA0: 697370FF 00000068
	v_cmp_lt_i32_e32 vcc, v185, v194                           // 000000008AA8: 7D8385B9
	s_nop 0                                                    // 000000008AAC: BF800000
	v_cndmask_b32_e32 v104, v197, v104, vcc                    // 000000008AB0: 00D0D1C5
	v_add_u32_e32 v185, 0x69, v184                             // 000000008AB4: 697370FF 00000069
	v_cmp_lt_i32_e32 vcc, v185, v194                           // 000000008ABC: 7D8385B9
	s_nop 0                                                    // 000000008AC0: BF800000
	v_cndmask_b32_e32 v105, v197, v105, vcc                    // 000000008AC4: 00D2D3C5
	v_add_u32_e32 v185, 0x6a, v184                             // 000000008AC8: 697370FF 0000006A
	v_cmp_lt_i32_e32 vcc, v185, v194                           // 000000008AD0: 7D8385B9
	s_nop 0                                                    // 000000008AD4: BF800000
	v_cndmask_b32_e32 v106, v197, v106, vcc                    // 000000008AD8: 00D4D5C5
	v_add_u32_e32 v185, 0x6b, v184                             // 000000008ADC: 697370FF 0000006B
	v_cmp_lt_i32_e32 vcc, v185, v194                           // 000000008AE4: 7D8385B9
	s_nop 0                                                    // 000000008AE8: BF800000
	v_cndmask_b32_e32 v107, v197, v107, vcc                    // 000000008AEC: 00D6D7C5
	v_add_u32_e32 v185, 0x70, v184                             // 000000008AF0: 697370FF 00000070
	v_cmp_lt_i32_e32 vcc, v185, v194                           // 000000008AF8: 7D8385B9
	s_nop 0                                                    // 000000008AFC: BF800000
	v_cndmask_b32_e32 v108, v197, v108, vcc                    // 000000008B00: 00D8D9C5
	v_add_u32_e32 v185, 0x71, v184                             // 000000008B04: 697370FF 00000071
	v_cmp_lt_i32_e32 vcc, v185, v194                           // 000000008B0C: 7D8385B9
	s_nop 0                                                    // 000000008B10: BF800000
	v_cndmask_b32_e32 v109, v197, v109, vcc                    // 000000008B14: 00DADBC5
	v_add_u32_e32 v185, 0x72, v184                             // 000000008B18: 697370FF 00000072
	v_cmp_lt_i32_e32 vcc, v185, v194                           // 000000008B20: 7D8385B9
	s_nop 0                                                    // 000000008B24: BF800000
	v_cndmask_b32_e32 v110, v197, v110, vcc                    // 000000008B28: 00DCDDC5
	v_add_u32_e32 v185, 0x73, v184                             // 000000008B2C: 697370FF 00000073
	v_cmp_lt_i32_e32 vcc, v185, v194                           // 000000008B34: 7D8385B9
	s_nop 0                                                    // 000000008B38: BF800000
	v_cndmask_b32_e32 v111, v197, v111, vcc                    // 000000008B3C: 00DEDFC5
	v_add_u32_e32 v185, 0x78, v184                             // 000000008B40: 697370FF 00000078
	v_cmp_lt_i32_e32 vcc, v185, v194                           // 000000008B48: 7D8385B9
	s_nop 0                                                    // 000000008B4C: BF800000
	v_cndmask_b32_e32 v112, v197, v112, vcc                    // 000000008B50: 00E0E1C5
	v_add_u32_e32 v185, 0x79, v184                             // 000000008B54: 697370FF 00000079
	v_cmp_lt_i32_e32 vcc, v185, v194                           // 000000008B5C: 7D8385B9
	s_nop 0                                                    // 000000008B60: BF800000
	v_cndmask_b32_e32 v113, v197, v113, vcc                    // 000000008B64: 00E2E3C5
	v_add_u32_e32 v185, 0x7a, v184                             // 000000008B68: 697370FF 0000007A
	v_cmp_lt_i32_e32 vcc, v185, v194                           // 000000008B70: 7D8385B9
	s_nop 0                                                    // 000000008B74: BF800000
	v_cndmask_b32_e32 v114, v197, v114, vcc                    // 000000008B78: 00E4E5C5
	v_add_u32_e32 v185, 0x7b, v184                             // 000000008B7C: 697370FF 0000007B
	v_cmp_lt_i32_e32 vcc, v185, v194                           // 000000008B84: 7D8385B9
	s_nop 0                                                    // 000000008B88: BF800000
	v_cndmask_b32_e32 v115, v197, v115, vcc                    // 000000008B8C: 00E6E7C5
	v_mov_b32_e32 v193, v192                                   // 000000008B90: 7F8203C0
	v_max3_f32 v193, v52, v53, v193                            // 000000008B94: D1D300C1 07066B34
	v_max3_f32 v193, v54, v55, v193                            // 000000008B9C: D1D300C1 07066F36
	v_max3_f32 v193, v56, v57, v193                            // 000000008BA4: D1D300C1 07067338
	v_max3_f32 v193, v58, v59, v193                            // 000000008BAC: D1D300C1 0706773A
	v_max3_f32 v193, v60, v61, v193                            // 000000008BB4: D1D300C1 07067B3C
	v_max3_f32 v193, v62, v63, v193                            // 000000008BBC: D1D300C1 07067F3E
	v_max3_f32 v193, v64, v65, v193                            // 000000008BC4: D1D300C1 07068340
	v_max3_f32 v193, v66, v67, v193                            // 000000008BCC: D1D300C1 07068742
	v_max3_f32 v193, v68, v69, v193                            // 000000008BD4: D1D300C1 07068B44
	v_max3_f32 v193, v70, v71, v193                            // 000000008BDC: D1D300C1 07068F46
	v_max3_f32 v193, v72, v73, v193                            // 000000008BE4: D1D300C1 07069348
	v_max3_f32 v193, v74, v75, v193                            // 000000008BEC: D1D300C1 0706974A
	v_max3_f32 v193, v76, v77, v193                            // 000000008BF4: D1D300C1 07069B4C
	v_max3_f32 v193, v78, v79, v193                            // 000000008BFC: D1D300C1 07069F4E
	v_max3_f32 v193, v80, v81, v193                            // 000000008C04: D1D300C1 0706A350
	v_max3_f32 v193, v82, v83, v193                            // 000000008C0C: D1D300C1 0706A752
	v_max3_f32 v193, v84, v85, v193                            // 000000008C14: D1D300C1 0706AB54
	v_max3_f32 v193, v86, v87, v193                            // 000000008C1C: D1D300C1 0706AF56
	v_max3_f32 v193, v88, v89, v193                            // 000000008C24: D1D300C1 0706B358
	v_max3_f32 v193, v90, v91, v193                            // 000000008C2C: D1D300C1 0706B75A
	v_max3_f32 v193, v92, v93, v193                            // 000000008C34: D1D300C1 0706BB5C
	v_max3_f32 v193, v94, v95, v193                            // 000000008C3C: D1D300C1 0706BF5E
	v_max3_f32 v193, v96, v97, v193                            // 000000008C44: D1D300C1 0706C360
	v_max3_f32 v193, v98, v99, v193                            // 000000008C4C: D1D300C1 0706C762
	v_max3_f32 v193, v100, v101, v193                          // 000000008C54: D1D300C1 0706CB64
	v_max3_f32 v193, v102, v103, v193                          // 000000008C5C: D1D300C1 0706CF66
	v_max3_f32 v193, v104, v105, v193                          // 000000008C64: D1D300C1 0706D368
	v_max3_f32 v193, v106, v107, v193                          // 000000008C6C: D1D300C1 0706D76A
	v_max3_f32 v193, v108, v109, v193                          // 000000008C74: D1D300C1 0706DB6C
	v_max3_f32 v193, v110, v111, v193                          // 000000008C7C: D1D300C1 0706DF6E
	v_max3_f32 v193, v112, v113, v193                          // 000000008C84: D1D300C1 0706E370
	v_max3_f32 v193, v114, v115, v193                          // 000000008C8C: D1D300C1 0706E772
	v_mov_b32_e32 v184, v193                                   // 000000008C94: 7F7003C1
	s_nop 1                                                    // 000000008C98: BF800001
	s_nop 0                                                    // 000000008C9C: BF800000
	v_permlane32_swap_b32_e32 v184, v193                       // 000000008CA0: 7F70B5C1
	v_max_f32_e32 v193, v193, v184                             // 000000008CA4: 178371C1
	v_cmp_eq_u32_e64 s[66:67], v197, v193                      // 000000008CA8: D0CA0042 000383C5
	s_nop 0                                                    // 000000008CB0: BF800000
	v_cndmask_b32_e64 v193, v193, 0, s[66:67]                  // 000000008CB4: D10000C1 010901C1
	v_mul_f32_e64 v184, -s26, v193                             // 000000008CBC: D10500B8 2003821A
	v_mov_b32_e32 v185, v184                                   // 000000008CC4: 7F7203B8
	v_pk_fma_f32 v[52:53], v[52:53], s[26:27], v[184:185]      // 000000008CC8: D3B04034 1EE03534
	v_pk_fma_f32 v[54:55], v[54:55], s[26:27], v[184:185]      // 000000008CD0: D3B04036 1EE03536
	v_pk_fma_f32 v[56:57], v[56:57], s[26:27], v[184:185]      // 000000008CD8: D3B04038 1EE03538
	v_pk_fma_f32 v[58:59], v[58:59], s[26:27], v[184:185]      // 000000008CE0: D3B0403A 1EE0353A
	v_pk_fma_f32 v[60:61], v[60:61], s[26:27], v[184:185]      // 000000008CE8: D3B0403C 1EE0353C
	v_pk_fma_f32 v[62:63], v[62:63], s[26:27], v[184:185]      // 000000008CF0: D3B0403E 1EE0353E
	v_pk_fma_f32 v[64:65], v[64:65], s[26:27], v[184:185]      // 000000008CF8: D3B04040 1EE03540
	v_pk_fma_f32 v[66:67], v[66:67], s[26:27], v[184:185]      // 000000008D00: D3B04042 1EE03542
	v_pk_fma_f32 v[68:69], v[68:69], s[26:27], v[184:185]      // 000000008D08: D3B04044 1EE03544
	v_pk_fma_f32 v[70:71], v[70:71], s[26:27], v[184:185]      // 000000008D10: D3B04046 1EE03546
	v_pk_fma_f32 v[72:73], v[72:73], s[26:27], v[184:185]      // 000000008D18: D3B04048 1EE03548
	v_pk_fma_f32 v[74:75], v[74:75], s[26:27], v[184:185]      // 000000008D20: D3B0404A 1EE0354A
	v_pk_fma_f32 v[76:77], v[76:77], s[26:27], v[184:185]      // 000000008D28: D3B0404C 1EE0354C
	v_pk_fma_f32 v[78:79], v[78:79], s[26:27], v[184:185]      // 000000008D30: D3B0404E 1EE0354E
	v_pk_fma_f32 v[80:81], v[80:81], s[26:27], v[184:185]      // 000000008D38: D3B04050 1EE03550
	v_pk_fma_f32 v[82:83], v[82:83], s[26:27], v[184:185]      // 000000008D40: D3B04052 1EE03552
	v_pk_fma_f32 v[84:85], v[84:85], s[26:27], v[184:185]      // 000000008D48: D3B04054 1EE03554
	v_pk_fma_f32 v[86:87], v[86:87], s[26:27], v[184:185]      // 000000008D50: D3B04056 1EE03556
	v_pk_fma_f32 v[88:89], v[88:89], s[26:27], v[184:185]      // 000000008D58: D3B04058 1EE03558
	v_pk_fma_f32 v[90:91], v[90:91], s[26:27], v[184:185]      // 000000008D60: D3B0405A 1EE0355A
	v_pk_fma_f32 v[92:93], v[92:93], s[26:27], v[184:185]      // 000000008D68: D3B0405C 1EE0355C
	v_pk_fma_f32 v[94:95], v[94:95], s[26:27], v[184:185]      // 000000008D70: D3B0405E 1EE0355E
	v_pk_fma_f32 v[96:97], v[96:97], s[26:27], v[184:185]      // 000000008D78: D3B04060 1EE03560
	v_pk_fma_f32 v[98:99], v[98:99], s[26:27], v[184:185]      // 000000008D80: D3B04062 1EE03562
	v_pk_fma_f32 v[100:101], v[100:101], s[26:27], v[184:185]  // 000000008D88: D3B04064 1EE03564
	v_pk_fma_f32 v[102:103], v[102:103], s[26:27], v[184:185]  // 000000008D90: D3B04066 1EE03566
	v_pk_fma_f32 v[104:105], v[104:105], s[26:27], v[184:185]  // 000000008D98: D3B04068 1EE03568
	v_pk_fma_f32 v[106:107], v[106:107], s[26:27], v[184:185]  // 000000008DA0: D3B0406A 1EE0356A
	v_pk_fma_f32 v[108:109], v[108:109], s[26:27], v[184:185]  // 000000008DA8: D3B0406C 1EE0356C
	v_pk_fma_f32 v[110:111], v[110:111], s[26:27], v[184:185]  // 000000008DB0: D3B0406E 1EE0356E
	v_pk_fma_f32 v[112:113], v[112:113], s[26:27], v[184:185]  // 000000008DB8: D3B04070 1EE03570
	v_pk_fma_f32 v[114:115], v[114:115], s[26:27], v[184:185]  // 000000008DC0: D3B04072 1EE03572
	s_barrier                                                  // 000000008DC8: BF8A0000
	v_exp_f32_e32 v52, v52                                     // 000000008DCC: 7E684134
	v_exp_f32_e32 v53, v53                                     // 000000008DD0: 7E6A4135
	v_exp_f32_e32 v54, v54                                     // 000000008DD4: 7E6C4136
	v_exp_f32_e32 v55, v55                                     // 000000008DD8: 7E6E4137
	v_exp_f32_e32 v56, v56                                     // 000000008DDC: 7E704138
	v_exp_f32_e32 v57, v57                                     // 000000008DE0: 7E724139
	v_exp_f32_e32 v58, v58                                     // 000000008DE4: 7E74413A
	v_exp_f32_e32 v59, v59                                     // 000000008DE8: 7E76413B
	v_exp_f32_e32 v60, v60                                     // 000000008DEC: 7E78413C
	v_exp_f32_e32 v61, v61                                     // 000000008DF0: 7E7A413D
	v_exp_f32_e32 v62, v62                                     // 000000008DF4: 7E7C413E
	v_exp_f32_e32 v63, v63                                     // 000000008DF8: 7E7E413F
	v_exp_f32_e32 v64, v64                                     // 000000008DFC: 7E804140
	v_exp_f32_e32 v65, v65                                     // 000000008E00: 7E824141
	v_exp_f32_e32 v66, v66                                     // 000000008E04: 7E844142
	v_exp_f32_e32 v67, v67                                     // 000000008E08: 7E864143
	v_exp_f32_e32 v68, v68                                     // 000000008E0C: 7E884144
	v_exp_f32_e32 v69, v69                                     // 000000008E10: 7E8A4145
	v_exp_f32_e32 v70, v70                                     // 000000008E14: 7E8C4146
	v_exp_f32_e32 v71, v71                                     // 000000008E18: 7E8E4147
	v_exp_f32_e32 v72, v72                                     // 000000008E1C: 7E904148
	v_exp_f32_e32 v73, v73                                     // 000000008E20: 7E924149
	v_exp_f32_e32 v74, v74                                     // 000000008E24: 7E94414A
	v_exp_f32_e32 v75, v75                                     // 000000008E28: 7E96414B
	v_exp_f32_e32 v76, v76                                     // 000000008E2C: 7E98414C
	v_exp_f32_e32 v77, v77                                     // 000000008E30: 7E9A414D
	v_exp_f32_e32 v78, v78                                     // 000000008E34: 7E9C414E
	v_exp_f32_e32 v79, v79                                     // 000000008E38: 7E9E414F
	v_exp_f32_e32 v80, v80                                     // 000000008E3C: 7EA04150
	v_exp_f32_e32 v81, v81                                     // 000000008E40: 7EA24151
	v_exp_f32_e32 v82, v82                                     // 000000008E44: 7EA44152
	v_exp_f32_e32 v83, v83                                     // 000000008E48: 7EA64153
	v_exp_f32_e32 v84, v84                                     // 000000008E4C: 7EA84154
	v_exp_f32_e32 v85, v85                                     // 000000008E50: 7EAA4155
	v_exp_f32_e32 v86, v86                                     // 000000008E54: 7EAC4156
	v_exp_f32_e32 v87, v87                                     // 000000008E58: 7EAE4157
	v_exp_f32_e32 v88, v88                                     // 000000008E5C: 7EB04158
	v_exp_f32_e32 v89, v89                                     // 000000008E60: 7EB24159
	v_exp_f32_e32 v90, v90                                     // 000000008E64: 7EB4415A
	v_exp_f32_e32 v91, v91                                     // 000000008E68: 7EB6415B
	v_exp_f32_e32 v92, v92                                     // 000000008E6C: 7EB8415C
	v_exp_f32_e32 v93, v93                                     // 000000008E70: 7EBA415D
	v_exp_f32_e32 v94, v94                                     // 000000008E74: 7EBC415E
	v_exp_f32_e32 v95, v95                                     // 000000008E78: 7EBE415F
	v_exp_f32_e32 v96, v96                                     // 000000008E7C: 7EC04160
	v_exp_f32_e32 v97, v97                                     // 000000008E80: 7EC24161
	v_exp_f32_e32 v98, v98                                     // 000000008E84: 7EC44162
	v_exp_f32_e32 v99, v99                                     // 000000008E88: 7EC64163
	v_exp_f32_e32 v100, v100                                   // 000000008E8C: 7EC84164
	v_exp_f32_e32 v101, v101                                   // 000000008E90: 7ECA4165
	v_exp_f32_e32 v102, v102                                   // 000000008E94: 7ECC4166
	v_exp_f32_e32 v103, v103                                   // 000000008E98: 7ECE4167
	v_exp_f32_e32 v104, v104                                   // 000000008E9C: 7ED04168
	v_exp_f32_e32 v105, v105                                   // 000000008EA0: 7ED24169
	v_exp_f32_e32 v106, v106                                   // 000000008EA4: 7ED4416A
	v_exp_f32_e32 v107, v107                                   // 000000008EA8: 7ED6416B
	v_exp_f32_e32 v108, v108                                   // 000000008EAC: 7ED8416C
	v_exp_f32_e32 v109, v109                                   // 000000008EB0: 7EDA416D
	v_exp_f32_e32 v110, v110                                   // 000000008EB4: 7EDC416E
	v_exp_f32_e32 v111, v111                                   // 000000008EB8: 7EDE416F
	v_exp_f32_e32 v112, v112                                   // 000000008EBC: 7EE04170
	v_exp_f32_e32 v113, v113                                   // 000000008EC0: 7EE24171
	v_exp_f32_e32 v114, v114                                   // 000000008EC4: 7EE44172
	v_exp_f32_e32 v115, v115                                   // 000000008EC8: 7EE64173
	v_sub_f32_e32 v188, v192, v193                             // 000000008ECC: 057983C0
	v_cmp_eq_u32_e64 s[66:67], v197, v192                      // 000000008ED0: D0CA0042 000381C5
	s_nop 0                                                    // 000000008ED8: BF800000
	v_cndmask_b32_e64 v188, v188, 0, s[66:67]                  // 000000008EDC: D10000BC 010901BC
	v_mov_b32_e32 v192, v193                                   // 000000008EE4: 7F8003C1
	v_mul_f32_e32 v188, s26, v188                              // 000000008EE8: 0B79781A
	v_exp_f32_e32 v188, v188                                   // 000000008EEC: 7F7841BC
	s_nop 0                                                    // 000000008EF0: BF800000
	v_mul_f32_e32 v190, v188, v190                             // 000000008EF4: 0B7D7DBC
	v_add_f32_e32 v190, v52, v190                              // 000000008EF8: 037D7D34
	v_add_f32_e32 v190, v53, v190                              // 000000008EFC: 037D7D35
	v_add_f32_e32 v190, v54, v190                              // 000000008F00: 037D7D36
	v_add_f32_e32 v190, v55, v190                              // 000000008F04: 037D7D37
	v_add_f32_e32 v190, v56, v190                              // 000000008F08: 037D7D38
	v_add_f32_e32 v190, v57, v190                              // 000000008F0C: 037D7D39
	v_add_f32_e32 v190, v58, v190                              // 000000008F10: 037D7D3A
	v_add_f32_e32 v190, v59, v190                              // 000000008F14: 037D7D3B
	v_add_f32_e32 v190, v60, v190                              // 000000008F18: 037D7D3C
	v_add_f32_e32 v190, v61, v190                              // 000000008F1C: 037D7D3D
	v_add_f32_e32 v190, v62, v190                              // 000000008F20: 037D7D3E
	v_add_f32_e32 v190, v63, v190                              // 000000008F24: 037D7D3F
	v_add_f32_e32 v190, v64, v190                              // 000000008F28: 037D7D40
	v_add_f32_e32 v190, v65, v190                              // 000000008F2C: 037D7D41
	v_add_f32_e32 v190, v66, v190                              // 000000008F30: 037D7D42
	v_add_f32_e32 v190, v67, v190                              // 000000008F34: 037D7D43
	v_add_f32_e32 v190, v68, v190                              // 000000008F38: 037D7D44
	v_add_f32_e32 v190, v69, v190                              // 000000008F3C: 037D7D45
	v_add_f32_e32 v190, v70, v190                              // 000000008F40: 037D7D46
	v_add_f32_e32 v190, v71, v190                              // 000000008F44: 037D7D47
	v_add_f32_e32 v190, v72, v190                              // 000000008F48: 037D7D48
	v_add_f32_e32 v190, v73, v190                              // 000000008F4C: 037D7D49
	v_add_f32_e32 v190, v74, v190                              // 000000008F50: 037D7D4A
	v_add_f32_e32 v190, v75, v190                              // 000000008F54: 037D7D4B
	v_add_f32_e32 v190, v76, v190                              // 000000008F58: 037D7D4C
	v_add_f32_e32 v190, v77, v190                              // 000000008F5C: 037D7D4D
	v_add_f32_e32 v190, v78, v190                              // 000000008F60: 037D7D4E
	v_add_f32_e32 v190, v79, v190                              // 000000008F64: 037D7D4F
	v_add_f32_e32 v190, v80, v190                              // 000000008F68: 037D7D50
	v_add_f32_e32 v190, v81, v190                              // 000000008F6C: 037D7D51
	v_add_f32_e32 v190, v82, v190                              // 000000008F70: 037D7D52
	v_add_f32_e32 v190, v83, v190                              // 000000008F74: 037D7D53
	v_add_f32_e32 v190, v84, v190                              // 000000008F78: 037D7D54
	v_add_f32_e32 v190, v85, v190                              // 000000008F7C: 037D7D55
	v_add_f32_e32 v190, v86, v190                              // 000000008F80: 037D7D56
	v_add_f32_e32 v190, v87, v190                              // 000000008F84: 037D7D57
	v_add_f32_e32 v190, v88, v190                              // 000000008F88: 037D7D58
	v_add_f32_e32 v190, v89, v190                              // 000000008F8C: 037D7D59
	v_add_f32_e32 v190, v90, v190                              // 000000008F90: 037D7D5A
	v_add_f32_e32 v190, v91, v190                              // 000000008F94: 037D7D5B
	v_add_f32_e32 v190, v92, v190                              // 000000008F98: 037D7D5C
	v_add_f32_e32 v190, v93, v190                              // 000000008F9C: 037D7D5D
	v_add_f32_e32 v190, v94, v190                              // 000000008FA0: 037D7D5E
	v_add_f32_e32 v190, v95, v190                              // 000000008FA4: 037D7D5F
	v_add_f32_e32 v190, v96, v190                              // 000000008FA8: 037D7D60
	v_add_f32_e32 v190, v97, v190                              // 000000008FAC: 037D7D61
	v_add_f32_e32 v190, v98, v190                              // 000000008FB0: 037D7D62
	v_add_f32_e32 v190, v99, v190                              // 000000008FB4: 037D7D63
	v_add_f32_e32 v190, v100, v190                             // 000000008FB8: 037D7D64
	v_add_f32_e32 v190, v101, v190                             // 000000008FBC: 037D7D65
	v_add_f32_e32 v190, v102, v190                             // 000000008FC0: 037D7D66
	v_add_f32_e32 v190, v103, v190                             // 000000008FC4: 037D7D67
	v_add_f32_e32 v190, v104, v190                             // 000000008FC8: 037D7D68
	v_add_f32_e32 v190, v105, v190                             // 000000008FCC: 037D7D69
	v_add_f32_e32 v190, v106, v190                             // 000000008FD0: 037D7D6A
	v_add_f32_e32 v190, v107, v190                             // 000000008FD4: 037D7D6B
	v_add_f32_e32 v190, v108, v190                             // 000000008FD8: 037D7D6C
	v_add_f32_e32 v190, v109, v190                             // 000000008FDC: 037D7D6D
	v_add_f32_e32 v190, v110, v190                             // 000000008FE0: 037D7D6E
	v_add_f32_e32 v190, v111, v190                             // 000000008FE4: 037D7D6F
	v_add_f32_e32 v190, v112, v190                             // 000000008FE8: 037D7D70
	v_add_f32_e32 v190, v113, v190                             // 000000008FEC: 037D7D71
	v_add_f32_e32 v190, v114, v190                             // 000000008FF0: 037D7D72
	v_add_f32_e32 v190, v115, v190                             // 000000008FF4: 037D7D73
	v_mul_f32_e32 v116, v188, v116                             // 000000008FF8: 0AE8E9BC
	v_mul_f32_e32 v117, v188, v117                             // 000000008FFC: 0AEAEBBC
	v_mul_f32_e32 v118, v188, v118                             // 000000009000: 0AECEDBC
	v_mul_f32_e32 v119, v188, v119                             // 000000009004: 0AEEEFBC
	v_mul_f32_e32 v120, v188, v120                             // 000000009008: 0AF0F1BC
	v_mul_f32_e32 v121, v188, v121                             // 00000000900C: 0AF2F3BC
	v_mul_f32_e32 v122, v188, v122                             // 000000009010: 0AF4F5BC
	v_mul_f32_e32 v123, v188, v123                             // 000000009014: 0AF6F7BC
	v_mul_f32_e32 v124, v188, v124                             // 000000009018: 0AF8F9BC
	v_mul_f32_e32 v125, v188, v125                             // 00000000901C: 0AFAFBBC
	v_mul_f32_e32 v126, v188, v126                             // 000000009020: 0AFCFDBC
	v_mul_f32_e32 v127, v188, v127                             // 000000009024: 0AFEFFBC
	v_mul_f32_e32 v128, v188, v128                             // 000000009028: 0B0101BC
	v_mul_f32_e32 v129, v188, v129                             // 00000000902C: 0B0303BC
	v_mul_f32_e32 v130, v188, v130                             // 000000009030: 0B0505BC
	v_mul_f32_e32 v131, v188, v131                             // 000000009034: 0B0707BC
	v_mul_f32_e32 v132, v188, v132                             // 000000009038: 0B0909BC
	v_mul_f32_e32 v133, v188, v133                             // 00000000903C: 0B0B0BBC
	v_mul_f32_e32 v134, v188, v134                             // 000000009040: 0B0D0DBC
	v_mul_f32_e32 v135, v188, v135                             // 000000009044: 0B0F0FBC
	v_mul_f32_e32 v136, v188, v136                             // 000000009048: 0B1111BC
	v_mul_f32_e32 v137, v188, v137                             // 00000000904C: 0B1313BC
	v_mul_f32_e32 v138, v188, v138                             // 000000009050: 0B1515BC
	v_mul_f32_e32 v139, v188, v139                             // 000000009054: 0B1717BC
	v_mul_f32_e32 v140, v188, v140                             // 000000009058: 0B1919BC
	s_waitcnt vmcnt(0)                                         // 00000000905C: BF8C0F70
	s_barrier                                                  // 000000009060: BF8A0000
	v_mul_f32_e32 v141, v188, v141                             // 000000009064: 0B1B1BBC
	v_mul_f32_e32 v142, v188, v142                             // 000000009068: 0B1D1DBC
	v_mul_f32_e32 v143, v188, v143                             // 00000000906C: 0B1F1FBC
	v_mul_f32_e32 v144, v188, v144                             // 000000009070: 0B2121BC
	v_mul_f32_e32 v145, v188, v145                             // 000000009074: 0B2323BC
	v_mul_f32_e32 v146, v188, v146                             // 000000009078: 0B2525BC
	v_mul_f32_e32 v147, v188, v147                             // 00000000907C: 0B2727BC
	v_mul_f32_e32 v148, v188, v148                             // 000000009080: 0B2929BC
	v_mul_f32_e32 v149, v188, v149                             // 000000009084: 0B2B2BBC
	v_mul_f32_e32 v150, v188, v150                             // 000000009088: 0B2D2DBC
	v_mul_f32_e32 v151, v188, v151                             // 00000000908C: 0B2F2FBC
	v_mul_f32_e32 v152, v188, v152                             // 000000009090: 0B3131BC
	v_mul_f32_e32 v153, v188, v153                             // 000000009094: 0B3333BC
	v_mul_f32_e32 v154, v188, v154                             // 000000009098: 0B3535BC
	v_mul_f32_e32 v155, v188, v155                             // 00000000909C: 0B3737BC
	v_mul_f32_e32 v156, v188, v156                             // 0000000090A0: 0B3939BC
	v_mul_f32_e32 v157, v188, v157                             // 0000000090A4: 0B3B3BBC
	v_mul_f32_e32 v158, v188, v158                             // 0000000090A8: 0B3D3DBC
	v_mul_f32_e32 v159, v188, v159                             // 0000000090AC: 0B3F3FBC
	v_mul_f32_e32 v160, v188, v160                             // 0000000090B0: 0B4141BC
	v_mul_f32_e32 v161, v188, v161                             // 0000000090B4: 0B4343BC
	v_mul_f32_e32 v162, v188, v162                             // 0000000090B8: 0B4545BC
	v_mul_f32_e32 v163, v188, v163                             // 0000000090BC: 0B4747BC
	v_mul_f32_e32 v164, v188, v164                             // 0000000090C0: 0B4949BC
	v_mul_f32_e32 v165, v188, v165                             // 0000000090C4: 0B4B4BBC
	v_mul_f32_e32 v166, v188, v166                             // 0000000090C8: 0B4D4DBC
	v_mul_f32_e32 v167, v188, v167                             // 0000000090CC: 0B4F4FBC
	v_mul_f32_e32 v168, v188, v168                             // 0000000090D0: 0B5151BC
	v_mul_f32_e32 v169, v188, v169                             // 0000000090D4: 0B5353BC
	v_mul_f32_e32 v170, v188, v170                             // 0000000090D8: 0B5555BC
	v_mul_f32_e32 v171, v188, v171                             // 0000000090DC: 0B5757BC
	v_mul_f32_e32 v172, v188, v172                             // 0000000090E0: 0B5959BC
	v_mul_f32_e32 v173, v188, v173                             // 0000000090E4: 0B5B5BBC
	v_mul_f32_e32 v174, v188, v174                             // 0000000090E8: 0B5D5DBC
	v_mul_f32_e32 v175, v188, v175                             // 0000000090EC: 0B5F5FBC
	v_mul_f32_e32 v176, v188, v176                             // 0000000090F0: 0B6161BC
	v_mul_f32_e32 v177, v188, v177                             // 0000000090F4: 0B6363BC
	v_mul_f32_e32 v178, v188, v178                             // 0000000090F8: 0B6565BC
	v_mul_f32_e32 v179, v188, v179                             // 0000000090FC: 0B6767BC
	s_barrier                                                  // 000000009100: BF8A0000
	v_cvt_pk_fp8_f32 v52, v52, v53                             // 000000009104: D2A20034 00026B34
	v_cvt_pk_fp8_f32 v52, v54, v55 op_sel:[0,0,1]              // 00000000910C: D2A24034 00026F36
	v_cvt_pk_fp8_f32 v53, v56, v57                             // 000000009114: D2A20035 00027338
	v_cvt_pk_fp8_f32 v53, v58, v59 op_sel:[0,0,1]              // 00000000911C: D2A24035 0002773A
	v_cvt_pk_fp8_f32 v54, v60, v61                             // 000000009124: D2A20036 00027B3C
	v_cvt_pk_fp8_f32 v54, v62, v63 op_sel:[0,0,1]              // 00000000912C: D2A24036 00027F3E
	v_cvt_pk_fp8_f32 v55, v64, v65                             // 000000009134: D2A20037 00028340
	v_cvt_pk_fp8_f32 v55, v66, v67 op_sel:[0,0,1]              // 00000000913C: D2A24037 00028742
	v_cvt_pk_fp8_f32 v56, v68, v69                             // 000000009144: D2A20038 00028B44
	v_cvt_pk_fp8_f32 v56, v70, v71 op_sel:[0,0,1]              // 00000000914C: D2A24038 00028F46
	v_cvt_pk_fp8_f32 v57, v72, v73                             // 000000009154: D2A20039 00029348
	v_cvt_pk_fp8_f32 v57, v74, v75 op_sel:[0,0,1]              // 00000000915C: D2A24039 0002974A
	v_cvt_pk_fp8_f32 v58, v76, v77                             // 000000009164: D2A2003A 00029B4C
	v_cvt_pk_fp8_f32 v58, v78, v79 op_sel:[0,0,1]              // 00000000916C: D2A2403A 00029F4E
	v_cvt_pk_fp8_f32 v59, v80, v81                             // 000000009174: D2A2003B 0002A350
	v_cvt_pk_fp8_f32 v59, v82, v83 op_sel:[0,0,1]              // 00000000917C: D2A2403B 0002A752
	v_cvt_pk_fp8_f32 v60, v84, v85                             // 000000009184: D2A2003C 0002AB54
	v_cvt_pk_fp8_f32 v60, v86, v87 op_sel:[0,0,1]              // 00000000918C: D2A2403C 0002AF56
	v_cvt_pk_fp8_f32 v61, v88, v89                             // 000000009194: D2A2003D 0002B358
	v_cvt_pk_fp8_f32 v61, v90, v91 op_sel:[0,0,1]              // 00000000919C: D2A2403D 0002B75A
	v_cvt_pk_fp8_f32 v62, v92, v93                             // 0000000091A4: D2A2003E 0002BB5C
	v_cvt_pk_fp8_f32 v62, v94, v95 op_sel:[0,0,1]              // 0000000091AC: D2A2403E 0002BF5E
	v_cvt_pk_fp8_f32 v63, v96, v97                             // 0000000091B4: D2A2003F 0002C360
	v_cvt_pk_fp8_f32 v63, v98, v99 op_sel:[0,0,1]              // 0000000091BC: D2A2403F 0002C762
	v_cvt_pk_fp8_f32 v64, v100, v101                           // 0000000091C4: D2A20040 0002CB64
	v_cvt_pk_fp8_f32 v64, v102, v103 op_sel:[0,0,1]            // 0000000091CC: D2A24040 0002CF66
	v_cvt_pk_fp8_f32 v65, v104, v105                           // 0000000091D4: D2A20041 0002D368
	v_cvt_pk_fp8_f32 v65, v106, v107 op_sel:[0,0,1]            // 0000000091DC: D2A24041 0002D76A
	v_cvt_pk_fp8_f32 v66, v108, v109                           // 0000000091E4: D2A20042 0002DB6C
	v_cvt_pk_fp8_f32 v66, v110, v111 op_sel:[0,0,1]            // 0000000091EC: D2A24042 0002DF6E
	v_cvt_pk_fp8_f32 v67, v112, v113                           // 0000000091F4: D2A20043 0002E370
	v_cvt_pk_fp8_f32 v67, v114, v115 op_sel:[0,0,1]            // 0000000091FC: D2A24043 0002E772
	s_barrier                                                  // 000000009204: BF8A0000
	s_waitcnt lgkmcnt(8)                                       // 000000009208: BF8CC87F
	s_setprio 1                                                // 00000000920C: BF8F0001
	s_barrier                                                  // 000000009210: BF8A0000
	v_mfma_f32_32x32x64_f8f6f4 v[116:131], v[20:27], v[52:59], v[116:131]// 000000009214: D3AE0074 05D26914
	ds_read_b64_tr_b8 v[36:37], v219 offset:32                 // 00000000921C: D9C40020 240000DB
	ds_read_b64_tr_b8 v[38:39], v219 offset:288                // 000000009224: D9C40120 260000DB
	ds_read_b64_tr_b8 v[40:41], v219 offset:544                // 00000000922C: D9C40220 280000DB
	ds_read_b64_tr_b8 v[42:43], v219 offset:800                // 000000009234: D9C40320 2A0000DB
	s_waitcnt lgkmcnt(8)                                       // 00000000923C: BF8CC87F
	v_mfma_f32_32x32x64_f8f6f4 v[116:131], v[28:35], v[60:67], v[116:131]// 000000009240: D3AE0074 05D2791C
	ds_read_b64_tr_b8 v[44:45], v219 offset:8352               // 000000009248: D9C420A0 2C0000DB
	ds_read_b64_tr_b8 v[46:47], v219 offset:8608               // 000000009250: D9C421A0 2E0000DB
	ds_read_b64_tr_b8 v[48:49], v219 offset:8864               // 000000009258: D9C422A0 300000DB
	ds_read_b64_tr_b8 v[50:51], v219 offset:9120               // 000000009260: D9C423A0 320000DB
	s_waitcnt lgkmcnt(8)                                       // 000000009268: BF8CC87F
	v_mfma_f32_32x32x64_f8f6f4 v[132:147], v[36:43], v[52:59], v[132:147]// 00000000926C: D3AE0084 06126924
	ds_read_b64_tr_b8 v[20:21], v219 offset:64                 // 000000009274: D9C40040 140000DB
	ds_read_b64_tr_b8 v[22:23], v219 offset:320                // 00000000927C: D9C40140 160000DB
	ds_read_b64_tr_b8 v[24:25], v219 offset:576                // 000000009284: D9C40240 180000DB
	ds_read_b64_tr_b8 v[26:27], v219 offset:832                // 00000000928C: D9C40340 1A0000DB
	s_waitcnt lgkmcnt(8)                                       // 000000009294: BF8CC87F
	v_mfma_f32_32x32x64_f8f6f4 v[132:147], v[44:51], v[60:67], v[132:147]// 000000009298: D3AE0084 0612792C
	ds_read_b64_tr_b8 v[28:29], v219 offset:8384               // 0000000092A0: D9C420C0 1C0000DB
	ds_read_b64_tr_b8 v[30:31], v219 offset:8640               // 0000000092A8: D9C421C0 1E0000DB
	ds_read_b64_tr_b8 v[32:33], v219 offset:8896               // 0000000092B0: D9C422C0 200000DB
	ds_read_b64_tr_b8 v[34:35], v219 offset:9152               // 0000000092B8: D9C423C0 220000DB
	s_waitcnt lgkmcnt(8)                                       // 0000000092C0: BF8CC87F
	v_mfma_f32_32x32x64_f8f6f4 v[148:163], v[20:27], v[52:59], v[148:163]// 0000000092C4: D3AE0094 06526914
	ds_read_b64_tr_b8 v[36:37], v219 offset:96                 // 0000000092CC: D9C40060 240000DB
	ds_read_b64_tr_b8 v[38:39], v219 offset:352                // 0000000092D4: D9C40160 260000DB
	ds_read_b64_tr_b8 v[40:41], v219 offset:608                // 0000000092DC: D9C40260 280000DB
	ds_read_b64_tr_b8 v[42:43], v219 offset:864                // 0000000092E4: D9C40360 2A0000DB
	s_waitcnt lgkmcnt(8)                                       // 0000000092EC: BF8CC87F
	v_mfma_f32_32x32x64_f8f6f4 v[148:163], v[28:35], v[60:67], v[148:163]// 0000000092F0: D3AE0094 0652791C
	ds_read_b64_tr_b8 v[44:45], v219 offset:8416               // 0000000092F8: D9C420E0 2C0000DB
	ds_read_b64_tr_b8 v[46:47], v219 offset:8672               // 000000009300: D9C421E0 2E0000DB
	ds_read_b64_tr_b8 v[48:49], v219 offset:8928               // 000000009308: D9C422E0 300000DB
	ds_read_b64_tr_b8 v[50:51], v219 offset:9184               // 000000009310: D9C423E0 320000DB
	s_waitcnt lgkmcnt(8)                                       // 000000009318: BF8CC87F
	v_mfma_f32_32x32x64_f8f6f4 v[164:179], v[36:43], v[52:59], v[164:179]// 00000000931C: D3AE00A4 06926924
	ds_read_b128 v[20:23], v218 offset:16640                   // 000000009324: D9FE4100 140000DA
	ds_read_b128 v[24:27], v218 offset:16672                   // 00000000932C: D9FE4120 180000DA
	s_waitcnt lgkmcnt(6)                                       // 000000009334: BF8CC67F
	v_mfma_f32_32x32x64_f8f6f4 v[164:179], v[44:51], v[60:67], v[164:179]// 000000009338: D3AE00A4 0692792C
	ds_read_b128 v[28:31], v218 offset:20800                   // 000000009340: D9FE5140 1C0000DA
	ds_read_b128 v[32:35], v218 offset:20832                   // 000000009348: D9FE5160 200000DA
	s_addk_i32 s68, 0x80                                       // 000000009350: B7440080

0000000000009354 <label_5754>:
	s_cmp_lt_i32 s68, s43                                      // 000000009354: BF042B44
	s_cbranch_scc0 label_6534                                  // 000000009358: BF840376
	s_waitcnt lgkmcnt(2)                                       // 00000000935C: BF8CC27F
	v_mfma_f32_32x32x64_f8f6f4 v[52:67], v[20:27], v[4:11], 0  // 000000009360: D3AE0034 02020914
	v_mul_i32_i24_dpp v184, v181, v223 quad_perm:[0,0,0,0] row_mask:0xf bank_mask:0xf// 000000009368: 0D71BEFA FF0000B5
	v_mul_i32_i24_dpp v185, v181, v223 quad_perm:[1,1,1,1] row_mask:0xf bank_mask:0xf// 000000009370: 0D73BEFA FF0055B5
	v_mul_i32_i24_dpp v186, v181, v223 quad_perm:[2,2,2,2] row_mask:0xf bank_mask:0xf// 000000009378: 0D75BEFA FF00AAB5
	v_mul_i32_i24_dpp v187, v181, v223 quad_perm:[3,3,3,3] row_mask:0xf bank_mask:0xf// 000000009380: 0D77BEFA FF00FFB5
	v_add_u32_e32 v214, v213, v184                             // 000000009388: 69AD71D5
	v_add_u32_e32 v215, v213, v185                             // 00000000938C: 69AF73D5
	v_add_u32_e32 v216, v213, v186                             // 000000009390: 69B175D5
	v_add_u32_e32 v217, v213, v187                             // 000000009394: 69B377D5
	ds_read_b128 v[36:39], v218 offset:17152                   // 000000009398: D9FE4300 240000DA
	ds_read_b128 v[40:43], v218 offset:17184                   // 0000000093A0: D9FE4320 280000DA
	s_waitcnt lgkmcnt(2)                                       // 0000000093A8: BF8CC27F
	v_mfma_f32_32x32x64_f8f6f4 v[52:67], v[28:35], v[12:19], v[52:67]// 0000000093AC: D3AE0034 04D2191C
	s_add_u32 m0, s72, 0                                       // 0000000093B4: 807C8048
	buffer_load_dwordx4 v214, s[16:19], 0 offen lds            // 0000000093B8: E05D1000 800400D6
	ds_read_b128 v[44:47], v218 offset:21312                   // 0000000093C0: D9FE5340 2C0000DA
	ds_read_b128 v[48:51], v218 offset:21344                   // 0000000093C8: D9FE5360 300000DA
	s_waitcnt lgkmcnt(2)                                       // 0000000093D0: BF8CC27F
	v_mfma_f32_32x32x64_f8f6f4 v[68:83], v[36:43], v[4:11], 0  // 0000000093D4: D3AE0044 02020924
	s_add_u32 m0, s72, 0x410                                   // 0000000093DC: 807CFF48 00000410
	buffer_load_dwordx4 v215, s[16:19], 0 offen lds            // 0000000093E4: E05D1000 800400D7
	ds_read_b128 v[20:23], v218 offset:24960                   // 0000000093EC: D9FE6180 140000DA
	ds_read_b128 v[24:27], v218 offset:24992                   // 0000000093F4: D9FE61A0 180000DA
	s_waitcnt lgkmcnt(2)                                       // 0000000093FC: BF8CC27F
	v_mfma_f32_32x32x64_f8f6f4 v[68:83], v[44:51], v[12:19], v[68:83]// 000000009400: D3AE0044 0512192C
	s_add_u32 m0, s72, 0x820                                   // 000000009408: 807CFF48 00000820
	buffer_load_dwordx4 v216, s[16:19], 0 offen lds            // 000000009410: E05D1000 800400D8
	ds_read_b128 v[28:31], v218 offset:29120                   // 000000009418: D9FE71C0 1C0000DA
	ds_read_b128 v[32:35], v218 offset:29152                   // 000000009420: D9FE71E0 200000DA
	s_waitcnt lgkmcnt(2)                                       // 000000009428: BF8CC27F
	v_mfma_f32_32x32x64_f8f6f4 v[84:99], v[20:27], v[4:11], 0  // 00000000942C: D3AE0054 02020914
	s_add_u32 m0, s72, 0xc30                                   // 000000009434: 807CFF48 00000C30
	buffer_load_dwordx4 v217, s[16:19], 0 offen lds            // 00000000943C: E05D1000 800400D9
	ds_read_b128 v[36:39], v218 offset:25472                   // 000000009444: D9FE6380 240000DA
	ds_read_b128 v[40:43], v218 offset:25504                   // 00000000944C: D9FE63A0 280000DA
	s_waitcnt lgkmcnt(2)                                       // 000000009454: BF8CC27F
	v_mfma_f32_32x32x64_f8f6f4 v[84:99], v[28:35], v[12:19], v[84:99]// 000000009458: D3AE0054 0552191C
	ds_read_b128 v[44:47], v218 offset:29632                   // 000000009460: D9FE73C0 2C0000DA
	ds_read_b128 v[48:51], v218 offset:29664                   // 000000009468: D9FE73E0 300000DA
	s_waitcnt lgkmcnt(2)                                       // 000000009470: BF8CC27F
	v_mfma_f32_32x32x64_f8f6f4 v[100:115], v[36:43], v[4:11], 0// 000000009474: D3AE0064 02020924
	ds_read_b64_tr_b8 v[20:21], v219 offset:16640              // 00000000947C: D9C44100 140000DB
	ds_read_b64_tr_b8 v[22:23], v219 offset:16896              // 000000009484: D9C44200 160000DB
	ds_read_b64_tr_b8 v[24:25], v219 offset:17152              // 00000000948C: D9C44300 180000DB
	ds_read_b64_tr_b8 v[26:27], v219 offset:17408              // 000000009494: D9C44400 1A0000DB
	s_waitcnt lgkmcnt(4)                                       // 00000000949C: BF8CC47F
	v_mfma_f32_32x32x64_f8f6f4 v[100:115], v[44:51], v[12:19], v[100:115]// 0000000094A0: D3AE0064 0592192C
	ds_read_b64_tr_b8 v[28:29], v219 offset:24960              // 0000000094A8: D9C46180 1C0000DB
	ds_read_b64_tr_b8 v[30:31], v219 offset:25216              // 0000000094B0: D9C46280 1E0000DB
	ds_read_b64_tr_b8 v[32:33], v219 offset:25472              // 0000000094B8: D9C46380 200000DB
	ds_read_b64_tr_b8 v[34:35], v219 offset:25728              // 0000000094C0: D9C46480 220000DB
	s_nop 0                                                    // 0000000094C8: BF800000
	s_nop 4                                                    // 0000000094CC: BF800004
	s_barrier                                                  // 0000000094D0: BF8A0000
	s_setprio 0                                                // 0000000094D4: BF8F0000
	s_barrier                                                  // 0000000094D8: BF8A0000
	v_add_u32_e32 v184, s68, v195                              // 0000000094DC: 69718644
	v_add_u32_e32 v185, 0, v184                                // 0000000094E0: 69737080
	v_cmp_lt_i32_e32 vcc, v185, v194                           // 0000000094E4: 7D8385B9
	s_nop 0                                                    // 0000000094E8: BF800000
	v_cndmask_b32_e32 v52, v197, v52, vcc                      // 0000000094EC: 006869C5
	v_add_u32_e32 v185, 1, v184                                // 0000000094F0: 69737081
	v_cmp_lt_i32_e32 vcc, v185, v194                           // 0000000094F4: 7D8385B9
	s_nop 0                                                    // 0000000094F8: BF800000
	v_cndmask_b32_e32 v53, v197, v53, vcc                      // 0000000094FC: 006A6BC5
	v_add_u32_e32 v185, 2, v184                                // 000000009500: 69737082
	v_cmp_lt_i32_e32 vcc, v185, v194                           // 000000009504: 7D8385B9
	s_nop 0                                                    // 000000009508: BF800000
	v_cndmask_b32_e32 v54, v197, v54, vcc                      // 00000000950C: 006C6DC5
	v_add_u32_e32 v185, 3, v184                                // 000000009510: 69737083
	v_cmp_lt_i32_e32 vcc, v185, v194                           // 000000009514: 7D8385B9
	s_nop 0                                                    // 000000009518: BF800000
	v_cndmask_b32_e32 v55, v197, v55, vcc                      // 00000000951C: 006E6FC5
	v_add_u32_e32 v185, 8, v184                                // 000000009520: 69737088
	v_cmp_lt_i32_e32 vcc, v185, v194                           // 000000009524: 7D8385B9
	s_nop 0                                                    // 000000009528: BF800000
	v_cndmask_b32_e32 v56, v197, v56, vcc                      // 00000000952C: 007071C5
	v_add_u32_e32 v185, 9, v184                                // 000000009530: 69737089
	v_cmp_lt_i32_e32 vcc, v185, v194                           // 000000009534: 7D8385B9
	s_nop 0                                                    // 000000009538: BF800000
	v_cndmask_b32_e32 v57, v197, v57, vcc                      // 00000000953C: 007273C5
	v_add_u32_e32 v185, 10, v184                               // 000000009540: 6973708A
	v_cmp_lt_i32_e32 vcc, v185, v194                           // 000000009544: 7D8385B9
	s_nop 0                                                    // 000000009548: BF800000
	v_cndmask_b32_e32 v58, v197, v58, vcc                      // 00000000954C: 007475C5
	v_add_u32_e32 v185, 11, v184                               // 000000009550: 6973708B
	v_cmp_lt_i32_e32 vcc, v185, v194                           // 000000009554: 7D8385B9
	s_nop 0                                                    // 000000009558: BF800000
	v_cndmask_b32_e32 v59, v197, v59, vcc                      // 00000000955C: 007677C5
	v_add_u32_e32 v185, 16, v184                               // 000000009560: 69737090
	v_cmp_lt_i32_e32 vcc, v185, v194                           // 000000009564: 7D8385B9
	s_nop 0                                                    // 000000009568: BF800000
	v_cndmask_b32_e32 v60, v197, v60, vcc                      // 00000000956C: 007879C5
	v_add_u32_e32 v185, 17, v184                               // 000000009570: 69737091
	v_cmp_lt_i32_e32 vcc, v185, v194                           // 000000009574: 7D8385B9
	s_nop 0                                                    // 000000009578: BF800000
	v_cndmask_b32_e32 v61, v197, v61, vcc                      // 00000000957C: 007A7BC5
	v_add_u32_e32 v185, 18, v184                               // 000000009580: 69737092
	v_cmp_lt_i32_e32 vcc, v185, v194                           // 000000009584: 7D8385B9
	s_nop 0                                                    // 000000009588: BF800000
	v_cndmask_b32_e32 v62, v197, v62, vcc                      // 00000000958C: 007C7DC5
	v_add_u32_e32 v185, 19, v184                               // 000000009590: 69737093
	v_cmp_lt_i32_e32 vcc, v185, v194                           // 000000009594: 7D8385B9
	s_nop 0                                                    // 000000009598: BF800000
	v_cndmask_b32_e32 v63, v197, v63, vcc                      // 00000000959C: 007E7FC5
	v_add_u32_e32 v185, 24, v184                               // 0000000095A0: 69737098
	v_cmp_lt_i32_e32 vcc, v185, v194                           // 0000000095A4: 7D8385B9
	s_nop 0                                                    // 0000000095A8: BF800000
	v_cndmask_b32_e32 v64, v197, v64, vcc                      // 0000000095AC: 008081C5
	v_add_u32_e32 v185, 25, v184                               // 0000000095B0: 69737099
	v_cmp_lt_i32_e32 vcc, v185, v194                           // 0000000095B4: 7D8385B9
	s_nop 0                                                    // 0000000095B8: BF800000
	v_cndmask_b32_e32 v65, v197, v65, vcc                      // 0000000095BC: 008283C5
	v_add_u32_e32 v185, 26, v184                               // 0000000095C0: 6973709A
	v_cmp_lt_i32_e32 vcc, v185, v194                           // 0000000095C4: 7D8385B9
	s_nop 0                                                    // 0000000095C8: BF800000
	v_cndmask_b32_e32 v66, v197, v66, vcc                      // 0000000095CC: 008485C5
	v_add_u32_e32 v185, 27, v184                               // 0000000095D0: 6973709B
	v_cmp_lt_i32_e32 vcc, v185, v194                           // 0000000095D4: 7D8385B9
	s_nop 0                                                    // 0000000095D8: BF800000
	v_cndmask_b32_e32 v67, v197, v67, vcc                      // 0000000095DC: 008687C5
	v_add_u32_e32 v185, 32, v184                               // 0000000095E0: 697370A0
	v_cmp_lt_i32_e32 vcc, v185, v194                           // 0000000095E4: 7D8385B9
	s_nop 0                                                    // 0000000095E8: BF800000
	v_cndmask_b32_e32 v68, v197, v68, vcc                      // 0000000095EC: 008889C5
	v_add_u32_e32 v185, 33, v184                               // 0000000095F0: 697370A1
	v_cmp_lt_i32_e32 vcc, v185, v194                           // 0000000095F4: 7D8385B9
	s_nop 0                                                    // 0000000095F8: BF800000
	v_cndmask_b32_e32 v69, v197, v69, vcc                      // 0000000095FC: 008A8BC5
	v_add_u32_e32 v185, 34, v184                               // 000000009600: 697370A2
	v_cmp_lt_i32_e32 vcc, v185, v194                           // 000000009604: 7D8385B9
	s_nop 0                                                    // 000000009608: BF800000
	v_cndmask_b32_e32 v70, v197, v70, vcc                      // 00000000960C: 008C8DC5
	v_add_u32_e32 v185, 35, v184                               // 000000009610: 697370A3
	v_cmp_lt_i32_e32 vcc, v185, v194                           // 000000009614: 7D8385B9
	s_nop 0                                                    // 000000009618: BF800000
	v_cndmask_b32_e32 v71, v197, v71, vcc                      // 00000000961C: 008E8FC5
	v_add_u32_e32 v185, 40, v184                               // 000000009620: 697370A8
	v_cmp_lt_i32_e32 vcc, v185, v194                           // 000000009624: 7D8385B9
	s_nop 0                                                    // 000000009628: BF800000
	v_cndmask_b32_e32 v72, v197, v72, vcc                      // 00000000962C: 009091C5
	v_add_u32_e32 v185, 41, v184                               // 000000009630: 697370A9
	v_cmp_lt_i32_e32 vcc, v185, v194                           // 000000009634: 7D8385B9
	s_nop 0                                                    // 000000009638: BF800000
	v_cndmask_b32_e32 v73, v197, v73, vcc                      // 00000000963C: 009293C5
	v_add_u32_e32 v185, 42, v184                               // 000000009640: 697370AA
	v_cmp_lt_i32_e32 vcc, v185, v194                           // 000000009644: 7D8385B9
	s_nop 0                                                    // 000000009648: BF800000
	v_cndmask_b32_e32 v74, v197, v74, vcc                      // 00000000964C: 009495C5
	v_add_u32_e32 v185, 43, v184                               // 000000009650: 697370AB
	v_cmp_lt_i32_e32 vcc, v185, v194                           // 000000009654: 7D8385B9
	s_nop 0                                                    // 000000009658: BF800000
	v_cndmask_b32_e32 v75, v197, v75, vcc                      // 00000000965C: 009697C5
	v_add_u32_e32 v185, 48, v184                               // 000000009660: 697370B0
	v_cmp_lt_i32_e32 vcc, v185, v194                           // 000000009664: 7D8385B9
	s_nop 0                                                    // 000000009668: BF800000
	v_cndmask_b32_e32 v76, v197, v76, vcc                      // 00000000966C: 009899C5
	v_add_u32_e32 v185, 49, v184                               // 000000009670: 697370B1
	v_cmp_lt_i32_e32 vcc, v185, v194                           // 000000009674: 7D8385B9
	s_nop 0                                                    // 000000009678: BF800000
	v_cndmask_b32_e32 v77, v197, v77, vcc                      // 00000000967C: 009A9BC5
	v_add_u32_e32 v185, 50, v184                               // 000000009680: 697370B2
	v_cmp_lt_i32_e32 vcc, v185, v194                           // 000000009684: 7D8385B9
	s_nop 0                                                    // 000000009688: BF800000
	v_cndmask_b32_e32 v78, v197, v78, vcc                      // 00000000968C: 009C9DC5
	v_add_u32_e32 v185, 51, v184                               // 000000009690: 697370B3
	v_cmp_lt_i32_e32 vcc, v185, v194                           // 000000009694: 7D8385B9
	s_nop 0                                                    // 000000009698: BF800000
	v_cndmask_b32_e32 v79, v197, v79, vcc                      // 00000000969C: 009E9FC5
	v_add_u32_e32 v185, 56, v184                               // 0000000096A0: 697370B8
	v_cmp_lt_i32_e32 vcc, v185, v194                           // 0000000096A4: 7D8385B9
	s_nop 0                                                    // 0000000096A8: BF800000
	v_cndmask_b32_e32 v80, v197, v80, vcc                      // 0000000096AC: 00A0A1C5
	v_add_u32_e32 v185, 57, v184                               // 0000000096B0: 697370B9
	v_cmp_lt_i32_e32 vcc, v185, v194                           // 0000000096B4: 7D8385B9
	s_nop 0                                                    // 0000000096B8: BF800000
	v_cndmask_b32_e32 v81, v197, v81, vcc                      // 0000000096BC: 00A2A3C5
	v_add_u32_e32 v185, 58, v184                               // 0000000096C0: 697370BA
	v_cmp_lt_i32_e32 vcc, v185, v194                           // 0000000096C4: 7D8385B9
	s_nop 0                                                    // 0000000096C8: BF800000
	v_cndmask_b32_e32 v82, v197, v82, vcc                      // 0000000096CC: 00A4A5C5
	v_add_u32_e32 v185, 59, v184                               // 0000000096D0: 697370BB
	v_cmp_lt_i32_e32 vcc, v185, v194                           // 0000000096D4: 7D8385B9
	s_nop 0                                                    // 0000000096D8: BF800000
	v_cndmask_b32_e32 v83, v197, v83, vcc                      // 0000000096DC: 00A6A7C5
	v_add_u32_e32 v185, 64, v184                               // 0000000096E0: 697370C0
	v_cmp_lt_i32_e32 vcc, v185, v194                           // 0000000096E4: 7D8385B9
	s_nop 0                                                    // 0000000096E8: BF800000
	v_cndmask_b32_e32 v84, v197, v84, vcc                      // 0000000096EC: 00A8A9C5
	v_add_u32_e32 v185, 0x41, v184                             // 0000000096F0: 697370FF 00000041
	v_cmp_lt_i32_e32 vcc, v185, v194                           // 0000000096F8: 7D8385B9
	s_nop 0                                                    // 0000000096FC: BF800000
	v_cndmask_b32_e32 v85, v197, v85, vcc                      // 000000009700: 00AAABC5
	v_add_u32_e32 v185, 0x42, v184                             // 000000009704: 697370FF 00000042
	v_cmp_lt_i32_e32 vcc, v185, v194                           // 00000000970C: 7D8385B9
	s_nop 0                                                    // 000000009710: BF800000
	v_cndmask_b32_e32 v86, v197, v86, vcc                      // 000000009714: 00ACADC5
	v_add_u32_e32 v185, 0x43, v184                             // 000000009718: 697370FF 00000043
	v_cmp_lt_i32_e32 vcc, v185, v194                           // 000000009720: 7D8385B9
	s_nop 0                                                    // 000000009724: BF800000
	v_cndmask_b32_e32 v87, v197, v87, vcc                      // 000000009728: 00AEAFC5
	v_add_u32_e32 v185, 0x48, v184                             // 00000000972C: 697370FF 00000048
	v_cmp_lt_i32_e32 vcc, v185, v194                           // 000000009734: 7D8385B9
	s_nop 0                                                    // 000000009738: BF800000
	v_cndmask_b32_e32 v88, v197, v88, vcc                      // 00000000973C: 00B0B1C5
	v_add_u32_e32 v185, 0x49, v184                             // 000000009740: 697370FF 00000049
	v_cmp_lt_i32_e32 vcc, v185, v194                           // 000000009748: 7D8385B9
	s_nop 0                                                    // 00000000974C: BF800000
	v_cndmask_b32_e32 v89, v197, v89, vcc                      // 000000009750: 00B2B3C5
	v_add_u32_e32 v185, 0x4a, v184                             // 000000009754: 697370FF 0000004A
	v_cmp_lt_i32_e32 vcc, v185, v194                           // 00000000975C: 7D8385B9
	s_nop 0                                                    // 000000009760: BF800000
	v_cndmask_b32_e32 v90, v197, v90, vcc                      // 000000009764: 00B4B5C5
	v_add_u32_e32 v185, 0x4b, v184                             // 000000009768: 697370FF 0000004B
	v_cmp_lt_i32_e32 vcc, v185, v194                           // 000000009770: 7D8385B9
	s_nop 0                                                    // 000000009774: BF800000
	v_cndmask_b32_e32 v91, v197, v91, vcc                      // 000000009778: 00B6B7C5
	v_add_u32_e32 v185, 0x50, v184                             // 00000000977C: 697370FF 00000050
	v_cmp_lt_i32_e32 vcc, v185, v194                           // 000000009784: 7D8385B9
	s_nop 0                                                    // 000000009788: BF800000
	v_cndmask_b32_e32 v92, v197, v92, vcc                      // 00000000978C: 00B8B9C5
	v_add_u32_e32 v185, 0x51, v184                             // 000000009790: 697370FF 00000051
	v_cmp_lt_i32_e32 vcc, v185, v194                           // 000000009798: 7D8385B9
	s_nop 0                                                    // 00000000979C: BF800000
	v_cndmask_b32_e32 v93, v197, v93, vcc                      // 0000000097A0: 00BABBC5
	v_add_u32_e32 v185, 0x52, v184                             // 0000000097A4: 697370FF 00000052
	v_cmp_lt_i32_e32 vcc, v185, v194                           // 0000000097AC: 7D8385B9
	s_nop 0                                                    // 0000000097B0: BF800000
	v_cndmask_b32_e32 v94, v197, v94, vcc                      // 0000000097B4: 00BCBDC5
	v_add_u32_e32 v185, 0x53, v184                             // 0000000097B8: 697370FF 00000053
	v_cmp_lt_i32_e32 vcc, v185, v194                           // 0000000097C0: 7D8385B9
	s_nop 0                                                    // 0000000097C4: BF800000
	v_cndmask_b32_e32 v95, v197, v95, vcc                      // 0000000097C8: 00BEBFC5
	v_add_u32_e32 v185, 0x58, v184                             // 0000000097CC: 697370FF 00000058
	v_cmp_lt_i32_e32 vcc, v185, v194                           // 0000000097D4: 7D8385B9
	s_nop 0                                                    // 0000000097D8: BF800000
	v_cndmask_b32_e32 v96, v197, v96, vcc                      // 0000000097DC: 00C0C1C5
	v_add_u32_e32 v185, 0x59, v184                             // 0000000097E0: 697370FF 00000059
	v_cmp_lt_i32_e32 vcc, v185, v194                           // 0000000097E8: 7D8385B9
	s_nop 0                                                    // 0000000097EC: BF800000
	v_cndmask_b32_e32 v97, v197, v97, vcc                      // 0000000097F0: 00C2C3C5
	v_add_u32_e32 v185, 0x5a, v184                             // 0000000097F4: 697370FF 0000005A
	v_cmp_lt_i32_e32 vcc, v185, v194                           // 0000000097FC: 7D8385B9
	s_nop 0                                                    // 000000009800: BF800000
	v_cndmask_b32_e32 v98, v197, v98, vcc                      // 000000009804: 00C4C5C5
	v_add_u32_e32 v185, 0x5b, v184                             // 000000009808: 697370FF 0000005B
	v_cmp_lt_i32_e32 vcc, v185, v194                           // 000000009810: 7D8385B9
	s_nop 0                                                    // 000000009814: BF800000
	v_cndmask_b32_e32 v99, v197, v99, vcc                      // 000000009818: 00C6C7C5
	v_add_u32_e32 v185, 0x60, v184                             // 00000000981C: 697370FF 00000060
	v_cmp_lt_i32_e32 vcc, v185, v194                           // 000000009824: 7D8385B9
	s_nop 0                                                    // 000000009828: BF800000
	v_cndmask_b32_e32 v100, v197, v100, vcc                    // 00000000982C: 00C8C9C5
	v_add_u32_e32 v185, 0x61, v184                             // 000000009830: 697370FF 00000061
	v_cmp_lt_i32_e32 vcc, v185, v194                           // 000000009838: 7D8385B9
	s_nop 0                                                    // 00000000983C: BF800000
	v_cndmask_b32_e32 v101, v197, v101, vcc                    // 000000009840: 00CACBC5
	v_add_u32_e32 v185, 0x62, v184                             // 000000009844: 697370FF 00000062
	v_cmp_lt_i32_e32 vcc, v185, v194                           // 00000000984C: 7D8385B9
	s_nop 0                                                    // 000000009850: BF800000
	v_cndmask_b32_e32 v102, v197, v102, vcc                    // 000000009854: 00CCCDC5
	v_add_u32_e32 v185, 0x63, v184                             // 000000009858: 697370FF 00000063
	v_cmp_lt_i32_e32 vcc, v185, v194                           // 000000009860: 7D8385B9
	s_nop 0                                                    // 000000009864: BF800000
	v_cndmask_b32_e32 v103, v197, v103, vcc                    // 000000009868: 00CECFC5
	v_add_u32_e32 v185, 0x68, v184                             // 00000000986C: 697370FF 00000068
	v_cmp_lt_i32_e32 vcc, v185, v194                           // 000000009874: 7D8385B9
	s_nop 0                                                    // 000000009878: BF800000
	v_cndmask_b32_e32 v104, v197, v104, vcc                    // 00000000987C: 00D0D1C5
	v_add_u32_e32 v185, 0x69, v184                             // 000000009880: 697370FF 00000069
	v_cmp_lt_i32_e32 vcc, v185, v194                           // 000000009888: 7D8385B9
	s_nop 0                                                    // 00000000988C: BF800000
	v_cndmask_b32_e32 v105, v197, v105, vcc                    // 000000009890: 00D2D3C5
	v_add_u32_e32 v185, 0x6a, v184                             // 000000009894: 697370FF 0000006A
	v_cmp_lt_i32_e32 vcc, v185, v194                           // 00000000989C: 7D8385B9
	s_nop 0                                                    // 0000000098A0: BF800000
	v_cndmask_b32_e32 v106, v197, v106, vcc                    // 0000000098A4: 00D4D5C5
	v_add_u32_e32 v185, 0x6b, v184                             // 0000000098A8: 697370FF 0000006B
	v_cmp_lt_i32_e32 vcc, v185, v194                           // 0000000098B0: 7D8385B9
	s_nop 0                                                    // 0000000098B4: BF800000
	v_cndmask_b32_e32 v107, v197, v107, vcc                    // 0000000098B8: 00D6D7C5
	v_add_u32_e32 v185, 0x70, v184                             // 0000000098BC: 697370FF 00000070
	v_cmp_lt_i32_e32 vcc, v185, v194                           // 0000000098C4: 7D8385B9
	s_nop 0                                                    // 0000000098C8: BF800000
	v_cndmask_b32_e32 v108, v197, v108, vcc                    // 0000000098CC: 00D8D9C5
	v_add_u32_e32 v185, 0x71, v184                             // 0000000098D0: 697370FF 00000071
	v_cmp_lt_i32_e32 vcc, v185, v194                           // 0000000098D8: 7D8385B9
	s_nop 0                                                    // 0000000098DC: BF800000
	v_cndmask_b32_e32 v109, v197, v109, vcc                    // 0000000098E0: 00DADBC5
	v_add_u32_e32 v185, 0x72, v184                             // 0000000098E4: 697370FF 00000072
	v_cmp_lt_i32_e32 vcc, v185, v194                           // 0000000098EC: 7D8385B9
	s_nop 0                                                    // 0000000098F0: BF800000
	v_cndmask_b32_e32 v110, v197, v110, vcc                    // 0000000098F4: 00DCDDC5
	v_add_u32_e32 v185, 0x73, v184                             // 0000000098F8: 697370FF 00000073
	v_cmp_lt_i32_e32 vcc, v185, v194                           // 000000009900: 7D8385B9
	s_nop 0                                                    // 000000009904: BF800000
	v_cndmask_b32_e32 v111, v197, v111, vcc                    // 000000009908: 00DEDFC5
	v_add_u32_e32 v185, 0x78, v184                             // 00000000990C: 697370FF 00000078
	v_cmp_lt_i32_e32 vcc, v185, v194                           // 000000009914: 7D8385B9
	s_nop 0                                                    // 000000009918: BF800000
	v_cndmask_b32_e32 v112, v197, v112, vcc                    // 00000000991C: 00E0E1C5
	v_add_u32_e32 v185, 0x79, v184                             // 000000009920: 697370FF 00000079
	v_cmp_lt_i32_e32 vcc, v185, v194                           // 000000009928: 7D8385B9
	s_nop 0                                                    // 00000000992C: BF800000
	v_cndmask_b32_e32 v113, v197, v113, vcc                    // 000000009930: 00E2E3C5
	v_add_u32_e32 v185, 0x7a, v184                             // 000000009934: 697370FF 0000007A
	v_cmp_lt_i32_e32 vcc, v185, v194                           // 00000000993C: 7D8385B9
	s_nop 0                                                    // 000000009940: BF800000
	v_cndmask_b32_e32 v114, v197, v114, vcc                    // 000000009944: 00E4E5C5
	v_add_u32_e32 v185, 0x7b, v184                             // 000000009948: 697370FF 0000007B
	v_cmp_lt_i32_e32 vcc, v185, v194                           // 000000009950: 7D8385B9
	s_nop 0                                                    // 000000009954: BF800000
	v_cndmask_b32_e32 v115, v197, v115, vcc                    // 000000009958: 00E6E7C5
	v_mov_b32_e32 v193, v192                                   // 00000000995C: 7F8203C0
	v_max3_f32 v193, v52, v53, v193                            // 000000009960: D1D300C1 07066B34
	v_max3_f32 v193, v54, v55, v193                            // 000000009968: D1D300C1 07066F36
	v_max3_f32 v193, v56, v57, v193                            // 000000009970: D1D300C1 07067338
	v_max3_f32 v193, v58, v59, v193                            // 000000009978: D1D300C1 0706773A
	v_max3_f32 v193, v60, v61, v193                            // 000000009980: D1D300C1 07067B3C
	v_max3_f32 v193, v62, v63, v193                            // 000000009988: D1D300C1 07067F3E
	v_max3_f32 v193, v64, v65, v193                            // 000000009990: D1D300C1 07068340
	v_max3_f32 v193, v66, v67, v193                            // 000000009998: D1D300C1 07068742
	v_max3_f32 v193, v68, v69, v193                            // 0000000099A0: D1D300C1 07068B44
	v_max3_f32 v193, v70, v71, v193                            // 0000000099A8: D1D300C1 07068F46
	v_max3_f32 v193, v72, v73, v193                            // 0000000099B0: D1D300C1 07069348
	v_max3_f32 v193, v74, v75, v193                            // 0000000099B8: D1D300C1 0706974A
	v_max3_f32 v193, v76, v77, v193                            // 0000000099C0: D1D300C1 07069B4C
	v_max3_f32 v193, v78, v79, v193                            // 0000000099C8: D1D300C1 07069F4E
	v_max3_f32 v193, v80, v81, v193                            // 0000000099D0: D1D300C1 0706A350
	v_max3_f32 v193, v82, v83, v193                            // 0000000099D8: D1D300C1 0706A752
	v_max3_f32 v193, v84, v85, v193                            // 0000000099E0: D1D300C1 0706AB54
	v_max3_f32 v193, v86, v87, v193                            // 0000000099E8: D1D300C1 0706AF56
	v_max3_f32 v193, v88, v89, v193                            // 0000000099F0: D1D300C1 0706B358
	v_max3_f32 v193, v90, v91, v193                            // 0000000099F8: D1D300C1 0706B75A
	v_max3_f32 v193, v92, v93, v193                            // 000000009A00: D1D300C1 0706BB5C
	v_max3_f32 v193, v94, v95, v193                            // 000000009A08: D1D300C1 0706BF5E
	v_max3_f32 v193, v96, v97, v193                            // 000000009A10: D1D300C1 0706C360
	v_max3_f32 v193, v98, v99, v193                            // 000000009A18: D1D300C1 0706C762
	v_max3_f32 v193, v100, v101, v193                          // 000000009A20: D1D300C1 0706CB64
	v_max3_f32 v193, v102, v103, v193                          // 000000009A28: D1D300C1 0706CF66
	v_max3_f32 v193, v104, v105, v193                          // 000000009A30: D1D300C1 0706D368
	v_max3_f32 v193, v106, v107, v193                          // 000000009A38: D1D300C1 0706D76A
	v_max3_f32 v193, v108, v109, v193                          // 000000009A40: D1D300C1 0706DB6C
	v_max3_f32 v193, v110, v111, v193                          // 000000009A48: D1D300C1 0706DF6E
	v_max3_f32 v193, v112, v113, v193                          // 000000009A50: D1D300C1 0706E370
	v_max3_f32 v193, v114, v115, v193                          // 000000009A58: D1D300C1 0706E772
	v_mov_b32_e32 v184, v193                                   // 000000009A60: 7F7003C1
	s_nop 1                                                    // 000000009A64: BF800001
	s_nop 0                                                    // 000000009A68: BF800000
	v_permlane32_swap_b32_e32 v184, v193                       // 000000009A6C: 7F70B5C1
	v_max_f32_e32 v193, v193, v184                             // 000000009A70: 178371C1
	v_cmp_eq_u32_e64 s[66:67], v197, v193                      // 000000009A74: D0CA0042 000383C5
	s_nop 0                                                    // 000000009A7C: BF800000
	v_cndmask_b32_e64 v193, v193, 0, s[66:67]                  // 000000009A80: D10000C1 010901C1
	v_mul_f32_e64 v184, -s26, v193                             // 000000009A88: D10500B8 2003821A
	v_mov_b32_e32 v185, v184                                   // 000000009A90: 7F7203B8
	v_pk_fma_f32 v[52:53], v[52:53], s[26:27], v[184:185]      // 000000009A94: D3B04034 1EE03534
	v_pk_fma_f32 v[54:55], v[54:55], s[26:27], v[184:185]      // 000000009A9C: D3B04036 1EE03536
	v_pk_fma_f32 v[56:57], v[56:57], s[26:27], v[184:185]      // 000000009AA4: D3B04038 1EE03538
	v_pk_fma_f32 v[58:59], v[58:59], s[26:27], v[184:185]      // 000000009AAC: D3B0403A 1EE0353A
	v_pk_fma_f32 v[60:61], v[60:61], s[26:27], v[184:185]      // 000000009AB4: D3B0403C 1EE0353C
	v_pk_fma_f32 v[62:63], v[62:63], s[26:27], v[184:185]      // 000000009ABC: D3B0403E 1EE0353E
	v_pk_fma_f32 v[64:65], v[64:65], s[26:27], v[184:185]      // 000000009AC4: D3B04040 1EE03540
	v_pk_fma_f32 v[66:67], v[66:67], s[26:27], v[184:185]      // 000000009ACC: D3B04042 1EE03542
	v_pk_fma_f32 v[68:69], v[68:69], s[26:27], v[184:185]      // 000000009AD4: D3B04044 1EE03544
	v_pk_fma_f32 v[70:71], v[70:71], s[26:27], v[184:185]      // 000000009ADC: D3B04046 1EE03546
	v_pk_fma_f32 v[72:73], v[72:73], s[26:27], v[184:185]      // 000000009AE4: D3B04048 1EE03548
	v_pk_fma_f32 v[74:75], v[74:75], s[26:27], v[184:185]      // 000000009AEC: D3B0404A 1EE0354A
	v_pk_fma_f32 v[76:77], v[76:77], s[26:27], v[184:185]      // 000000009AF4: D3B0404C 1EE0354C
	v_pk_fma_f32 v[78:79], v[78:79], s[26:27], v[184:185]      // 000000009AFC: D3B0404E 1EE0354E
	v_pk_fma_f32 v[80:81], v[80:81], s[26:27], v[184:185]      // 000000009B04: D3B04050 1EE03550
	v_pk_fma_f32 v[82:83], v[82:83], s[26:27], v[184:185]      // 000000009B0C: D3B04052 1EE03552
	v_pk_fma_f32 v[84:85], v[84:85], s[26:27], v[184:185]      // 000000009B14: D3B04054 1EE03554
	v_pk_fma_f32 v[86:87], v[86:87], s[26:27], v[184:185]      // 000000009B1C: D3B04056 1EE03556
	v_pk_fma_f32 v[88:89], v[88:89], s[26:27], v[184:185]      // 000000009B24: D3B04058 1EE03558
	v_pk_fma_f32 v[90:91], v[90:91], s[26:27], v[184:185]      // 000000009B2C: D3B0405A 1EE0355A
	v_pk_fma_f32 v[92:93], v[92:93], s[26:27], v[184:185]      // 000000009B34: D3B0405C 1EE0355C
	v_pk_fma_f32 v[94:95], v[94:95], s[26:27], v[184:185]      // 000000009B3C: D3B0405E 1EE0355E
	v_pk_fma_f32 v[96:97], v[96:97], s[26:27], v[184:185]      // 000000009B44: D3B04060 1EE03560
	v_pk_fma_f32 v[98:99], v[98:99], s[26:27], v[184:185]      // 000000009B4C: D3B04062 1EE03562
	v_pk_fma_f32 v[100:101], v[100:101], s[26:27], v[184:185]  // 000000009B54: D3B04064 1EE03564
	v_pk_fma_f32 v[102:103], v[102:103], s[26:27], v[184:185]  // 000000009B5C: D3B04066 1EE03566
	v_pk_fma_f32 v[104:105], v[104:105], s[26:27], v[184:185]  // 000000009B64: D3B04068 1EE03568
	v_pk_fma_f32 v[106:107], v[106:107], s[26:27], v[184:185]  // 000000009B6C: D3B0406A 1EE0356A
	v_pk_fma_f32 v[108:109], v[108:109], s[26:27], v[184:185]  // 000000009B74: D3B0406C 1EE0356C
	v_pk_fma_f32 v[110:111], v[110:111], s[26:27], v[184:185]  // 000000009B7C: D3B0406E 1EE0356E
	v_pk_fma_f32 v[112:113], v[112:113], s[26:27], v[184:185]  // 000000009B84: D3B04070 1EE03570
	v_pk_fma_f32 v[114:115], v[114:115], s[26:27], v[184:185]  // 000000009B8C: D3B04072 1EE03572
	s_barrier                                                  // 000000009B94: BF8A0000
	v_exp_f32_e32 v52, v52                                     // 000000009B98: 7E684134
	v_exp_f32_e32 v53, v53                                     // 000000009B9C: 7E6A4135
	v_exp_f32_e32 v54, v54                                     // 000000009BA0: 7E6C4136
	v_exp_f32_e32 v55, v55                                     // 000000009BA4: 7E6E4137
	v_exp_f32_e32 v56, v56                                     // 000000009BA8: 7E704138
	v_exp_f32_e32 v57, v57                                     // 000000009BAC: 7E724139
	v_exp_f32_e32 v58, v58                                     // 000000009BB0: 7E74413A
	v_exp_f32_e32 v59, v59                                     // 000000009BB4: 7E76413B
	v_exp_f32_e32 v60, v60                                     // 000000009BB8: 7E78413C
	v_exp_f32_e32 v61, v61                                     // 000000009BBC: 7E7A413D
	v_exp_f32_e32 v62, v62                                     // 000000009BC0: 7E7C413E
	v_exp_f32_e32 v63, v63                                     // 000000009BC4: 7E7E413F
	v_exp_f32_e32 v64, v64                                     // 000000009BC8: 7E804140
	v_exp_f32_e32 v65, v65                                     // 000000009BCC: 7E824141
	v_exp_f32_e32 v66, v66                                     // 000000009BD0: 7E844142
	v_exp_f32_e32 v67, v67                                     // 000000009BD4: 7E864143
	v_exp_f32_e32 v68, v68                                     // 000000009BD8: 7E884144
	v_exp_f32_e32 v69, v69                                     // 000000009BDC: 7E8A4145
	v_exp_f32_e32 v70, v70                                     // 000000009BE0: 7E8C4146
	v_exp_f32_e32 v71, v71                                     // 000000009BE4: 7E8E4147
	v_exp_f32_e32 v72, v72                                     // 000000009BE8: 7E904148
	v_exp_f32_e32 v73, v73                                     // 000000009BEC: 7E924149
	v_exp_f32_e32 v74, v74                                     // 000000009BF0: 7E94414A
	v_exp_f32_e32 v75, v75                                     // 000000009BF4: 7E96414B
	v_exp_f32_e32 v76, v76                                     // 000000009BF8: 7E98414C
	v_exp_f32_e32 v77, v77                                     // 000000009BFC: 7E9A414D
	v_exp_f32_e32 v78, v78                                     // 000000009C00: 7E9C414E
	v_exp_f32_e32 v79, v79                                     // 000000009C04: 7E9E414F
	v_exp_f32_e32 v80, v80                                     // 000000009C08: 7EA04150
	v_exp_f32_e32 v81, v81                                     // 000000009C0C: 7EA24151
	v_exp_f32_e32 v82, v82                                     // 000000009C10: 7EA44152
	v_exp_f32_e32 v83, v83                                     // 000000009C14: 7EA64153
	v_exp_f32_e32 v84, v84                                     // 000000009C18: 7EA84154
	v_exp_f32_e32 v85, v85                                     // 000000009C1C: 7EAA4155
	v_exp_f32_e32 v86, v86                                     // 000000009C20: 7EAC4156
	v_exp_f32_e32 v87, v87                                     // 000000009C24: 7EAE4157
	v_exp_f32_e32 v88, v88                                     // 000000009C28: 7EB04158
	v_exp_f32_e32 v89, v89                                     // 000000009C2C: 7EB24159
	v_exp_f32_e32 v90, v90                                     // 000000009C30: 7EB4415A
	v_exp_f32_e32 v91, v91                                     // 000000009C34: 7EB6415B
	v_exp_f32_e32 v92, v92                                     // 000000009C38: 7EB8415C
	v_exp_f32_e32 v93, v93                                     // 000000009C3C: 7EBA415D
	v_exp_f32_e32 v94, v94                                     // 000000009C40: 7EBC415E
	v_exp_f32_e32 v95, v95                                     // 000000009C44: 7EBE415F
	v_exp_f32_e32 v96, v96                                     // 000000009C48: 7EC04160
	v_exp_f32_e32 v97, v97                                     // 000000009C4C: 7EC24161
	v_exp_f32_e32 v98, v98                                     // 000000009C50: 7EC44162
	v_exp_f32_e32 v99, v99                                     // 000000009C54: 7EC64163
	v_exp_f32_e32 v100, v100                                   // 000000009C58: 7EC84164
	v_exp_f32_e32 v101, v101                                   // 000000009C5C: 7ECA4165
	v_exp_f32_e32 v102, v102                                   // 000000009C60: 7ECC4166
	v_exp_f32_e32 v103, v103                                   // 000000009C64: 7ECE4167
	v_exp_f32_e32 v104, v104                                   // 000000009C68: 7ED04168
	v_exp_f32_e32 v105, v105                                   // 000000009C6C: 7ED24169
	v_exp_f32_e32 v106, v106                                   // 000000009C70: 7ED4416A
	v_exp_f32_e32 v107, v107                                   // 000000009C74: 7ED6416B
	v_exp_f32_e32 v108, v108                                   // 000000009C78: 7ED8416C
	v_exp_f32_e32 v109, v109                                   // 000000009C7C: 7EDA416D
	v_exp_f32_e32 v110, v110                                   // 000000009C80: 7EDC416E
	v_exp_f32_e32 v111, v111                                   // 000000009C84: 7EDE416F
	v_exp_f32_e32 v112, v112                                   // 000000009C88: 7EE04170
	v_exp_f32_e32 v113, v113                                   // 000000009C8C: 7EE24171
	v_exp_f32_e32 v114, v114                                   // 000000009C90: 7EE44172
	v_exp_f32_e32 v115, v115                                   // 000000009C94: 7EE64173
	v_sub_f32_e32 v188, v192, v193                             // 000000009C98: 057983C0
	v_cmp_eq_u32_e64 s[66:67], v197, v192                      // 000000009C9C: D0CA0042 000381C5
	s_nop 0                                                    // 000000009CA4: BF800000
	v_cndmask_b32_e64 v188, v188, 0, s[66:67]                  // 000000009CA8: D10000BC 010901BC
	v_mov_b32_e32 v192, v193                                   // 000000009CB0: 7F8003C1
	v_mul_f32_e32 v188, s26, v188                              // 000000009CB4: 0B79781A
	v_exp_f32_e32 v188, v188                                   // 000000009CB8: 7F7841BC
	s_nop 0                                                    // 000000009CBC: BF800000
	v_mul_f32_e32 v190, v188, v190                             // 000000009CC0: 0B7D7DBC
	v_add_f32_e32 v190, v52, v190                              // 000000009CC4: 037D7D34
	v_add_f32_e32 v190, v53, v190                              // 000000009CC8: 037D7D35
	v_add_f32_e32 v190, v54, v190                              // 000000009CCC: 037D7D36
	v_add_f32_e32 v190, v55, v190                              // 000000009CD0: 037D7D37
	v_add_f32_e32 v190, v56, v190                              // 000000009CD4: 037D7D38
	v_add_f32_e32 v190, v57, v190                              // 000000009CD8: 037D7D39
	v_add_f32_e32 v190, v58, v190                              // 000000009CDC: 037D7D3A
	v_add_f32_e32 v190, v59, v190                              // 000000009CE0: 037D7D3B
	v_add_f32_e32 v190, v60, v190                              // 000000009CE4: 037D7D3C
	v_add_f32_e32 v190, v61, v190                              // 000000009CE8: 037D7D3D
	v_add_f32_e32 v190, v62, v190                              // 000000009CEC: 037D7D3E
	v_add_f32_e32 v190, v63, v190                              // 000000009CF0: 037D7D3F
	v_add_f32_e32 v190, v64, v190                              // 000000009CF4: 037D7D40
	v_add_f32_e32 v190, v65, v190                              // 000000009CF8: 037D7D41
	v_add_f32_e32 v190, v66, v190                              // 000000009CFC: 037D7D42
	v_add_f32_e32 v190, v67, v190                              // 000000009D00: 037D7D43
	v_add_f32_e32 v190, v68, v190                              // 000000009D04: 037D7D44
	v_add_f32_e32 v190, v69, v190                              // 000000009D08: 037D7D45
	v_add_f32_e32 v190, v70, v190                              // 000000009D0C: 037D7D46
	v_add_f32_e32 v190, v71, v190                              // 000000009D10: 037D7D47
	v_add_f32_e32 v190, v72, v190                              // 000000009D14: 037D7D48
	v_add_f32_e32 v190, v73, v190                              // 000000009D18: 037D7D49
	v_add_f32_e32 v190, v74, v190                              // 000000009D1C: 037D7D4A
	v_add_f32_e32 v190, v75, v190                              // 000000009D20: 037D7D4B
	v_add_f32_e32 v190, v76, v190                              // 000000009D24: 037D7D4C
	v_add_f32_e32 v190, v77, v190                              // 000000009D28: 037D7D4D
	v_add_f32_e32 v190, v78, v190                              // 000000009D2C: 037D7D4E
	v_add_f32_e32 v190, v79, v190                              // 000000009D30: 037D7D4F
	v_add_f32_e32 v190, v80, v190                              // 000000009D34: 037D7D50
	v_add_f32_e32 v190, v81, v190                              // 000000009D38: 037D7D51
	v_add_f32_e32 v190, v82, v190                              // 000000009D3C: 037D7D52
	v_add_f32_e32 v190, v83, v190                              // 000000009D40: 037D7D53
	v_add_f32_e32 v190, v84, v190                              // 000000009D44: 037D7D54
	v_add_f32_e32 v190, v85, v190                              // 000000009D48: 037D7D55
	v_add_f32_e32 v190, v86, v190                              // 000000009D4C: 037D7D56
	v_add_f32_e32 v190, v87, v190                              // 000000009D50: 037D7D57
	v_add_f32_e32 v190, v88, v190                              // 000000009D54: 037D7D58
	v_add_f32_e32 v190, v89, v190                              // 000000009D58: 037D7D59
	v_add_f32_e32 v190, v90, v190                              // 000000009D5C: 037D7D5A
	v_add_f32_e32 v190, v91, v190                              // 000000009D60: 037D7D5B
	v_add_f32_e32 v190, v92, v190                              // 000000009D64: 037D7D5C
	v_add_f32_e32 v190, v93, v190                              // 000000009D68: 037D7D5D
	v_add_f32_e32 v190, v94, v190                              // 000000009D6C: 037D7D5E
	v_add_f32_e32 v190, v95, v190                              // 000000009D70: 037D7D5F
	v_add_f32_e32 v190, v96, v190                              // 000000009D74: 037D7D60
	v_add_f32_e32 v190, v97, v190                              // 000000009D78: 037D7D61
	v_add_f32_e32 v190, v98, v190                              // 000000009D7C: 037D7D62
	v_add_f32_e32 v190, v99, v190                              // 000000009D80: 037D7D63
	v_add_f32_e32 v190, v100, v190                             // 000000009D84: 037D7D64
	v_add_f32_e32 v190, v101, v190                             // 000000009D88: 037D7D65
	v_add_f32_e32 v190, v102, v190                             // 000000009D8C: 037D7D66
	v_add_f32_e32 v190, v103, v190                             // 000000009D90: 037D7D67
	v_add_f32_e32 v190, v104, v190                             // 000000009D94: 037D7D68
	v_add_f32_e32 v190, v105, v190                             // 000000009D98: 037D7D69
	v_add_f32_e32 v190, v106, v190                             // 000000009D9C: 037D7D6A
	v_add_f32_e32 v190, v107, v190                             // 000000009DA0: 037D7D6B
	v_add_f32_e32 v190, v108, v190                             // 000000009DA4: 037D7D6C
	v_add_f32_e32 v190, v109, v190                             // 000000009DA8: 037D7D6D
	v_add_f32_e32 v190, v110, v190                             // 000000009DAC: 037D7D6E
	v_add_f32_e32 v190, v111, v190                             // 000000009DB0: 037D7D6F
	v_add_f32_e32 v190, v112, v190                             // 000000009DB4: 037D7D70
	v_add_f32_e32 v190, v113, v190                             // 000000009DB8: 037D7D71
	v_add_f32_e32 v190, v114, v190                             // 000000009DBC: 037D7D72
	v_add_f32_e32 v190, v115, v190                             // 000000009DC0: 037D7D73
	v_mul_f32_e32 v116, v188, v116                             // 000000009DC4: 0AE8E9BC
	v_mul_f32_e32 v117, v188, v117                             // 000000009DC8: 0AEAEBBC
	v_mul_f32_e32 v118, v188, v118                             // 000000009DCC: 0AECEDBC
	v_mul_f32_e32 v119, v188, v119                             // 000000009DD0: 0AEEEFBC
	v_mul_f32_e32 v120, v188, v120                             // 000000009DD4: 0AF0F1BC
	v_mul_f32_e32 v121, v188, v121                             // 000000009DD8: 0AF2F3BC
	v_mul_f32_e32 v122, v188, v122                             // 000000009DDC: 0AF4F5BC
	v_mul_f32_e32 v123, v188, v123                             // 000000009DE0: 0AF6F7BC
	v_mul_f32_e32 v124, v188, v124                             // 000000009DE4: 0AF8F9BC
	v_mul_f32_e32 v125, v188, v125                             // 000000009DE8: 0AFAFBBC
	v_mul_f32_e32 v126, v188, v126                             // 000000009DEC: 0AFCFDBC
	v_mul_f32_e32 v127, v188, v127                             // 000000009DF0: 0AFEFFBC
	v_mul_f32_e32 v128, v188, v128                             // 000000009DF4: 0B0101BC
	v_mul_f32_e32 v129, v188, v129                             // 000000009DF8: 0B0303BC
	v_mul_f32_e32 v130, v188, v130                             // 000000009DFC: 0B0505BC
	v_mul_f32_e32 v131, v188, v131                             // 000000009E00: 0B0707BC
	v_mul_f32_e32 v132, v188, v132                             // 000000009E04: 0B0909BC
	v_mul_f32_e32 v133, v188, v133                             // 000000009E08: 0B0B0BBC
	v_mul_f32_e32 v134, v188, v134                             // 000000009E0C: 0B0D0DBC
	v_mul_f32_e32 v135, v188, v135                             // 000000009E10: 0B0F0FBC
	v_mul_f32_e32 v136, v188, v136                             // 000000009E14: 0B1111BC
	v_mul_f32_e32 v137, v188, v137                             // 000000009E18: 0B1313BC
	v_mul_f32_e32 v138, v188, v138                             // 000000009E1C: 0B1515BC
	v_mul_f32_e32 v139, v188, v139                             // 000000009E20: 0B1717BC
	v_mul_f32_e32 v140, v188, v140                             // 000000009E24: 0B1919BC
	s_waitcnt vmcnt(0)                                         // 000000009E28: BF8C0F70
	s_barrier                                                  // 000000009E2C: BF8A0000
	v_mul_f32_e32 v141, v188, v141                             // 000000009E30: 0B1B1BBC
	v_mul_f32_e32 v142, v188, v142                             // 000000009E34: 0B1D1DBC
	v_mul_f32_e32 v143, v188, v143                             // 000000009E38: 0B1F1FBC
	v_mul_f32_e32 v144, v188, v144                             // 000000009E3C: 0B2121BC
	v_mul_f32_e32 v145, v188, v145                             // 000000009E40: 0B2323BC
	v_mul_f32_e32 v146, v188, v146                             // 000000009E44: 0B2525BC
	v_mul_f32_e32 v147, v188, v147                             // 000000009E48: 0B2727BC
	v_mul_f32_e32 v148, v188, v148                             // 000000009E4C: 0B2929BC
	v_mul_f32_e32 v149, v188, v149                             // 000000009E50: 0B2B2BBC
	v_mul_f32_e32 v150, v188, v150                             // 000000009E54: 0B2D2DBC
	v_mul_f32_e32 v151, v188, v151                             // 000000009E58: 0B2F2FBC
	v_mul_f32_e32 v152, v188, v152                             // 000000009E5C: 0B3131BC
	v_mul_f32_e32 v153, v188, v153                             // 000000009E60: 0B3333BC
	v_mul_f32_e32 v154, v188, v154                             // 000000009E64: 0B3535BC
	v_mul_f32_e32 v155, v188, v155                             // 000000009E68: 0B3737BC
	v_mul_f32_e32 v156, v188, v156                             // 000000009E6C: 0B3939BC
	v_mul_f32_e32 v157, v188, v157                             // 000000009E70: 0B3B3BBC
	v_mul_f32_e32 v158, v188, v158                             // 000000009E74: 0B3D3DBC
	v_mul_f32_e32 v159, v188, v159                             // 000000009E78: 0B3F3FBC
	v_mul_f32_e32 v160, v188, v160                             // 000000009E7C: 0B4141BC
	v_mul_f32_e32 v161, v188, v161                             // 000000009E80: 0B4343BC
	v_mul_f32_e32 v162, v188, v162                             // 000000009E84: 0B4545BC
	v_mul_f32_e32 v163, v188, v163                             // 000000009E88: 0B4747BC
	v_mul_f32_e32 v164, v188, v164                             // 000000009E8C: 0B4949BC
	v_mul_f32_e32 v165, v188, v165                             // 000000009E90: 0B4B4BBC
	v_mul_f32_e32 v166, v188, v166                             // 000000009E94: 0B4D4DBC
	v_mul_f32_e32 v167, v188, v167                             // 000000009E98: 0B4F4FBC
	v_mul_f32_e32 v168, v188, v168                             // 000000009E9C: 0B5151BC
	v_mul_f32_e32 v169, v188, v169                             // 000000009EA0: 0B5353BC
	v_mul_f32_e32 v170, v188, v170                             // 000000009EA4: 0B5555BC
	v_mul_f32_e32 v171, v188, v171                             // 000000009EA8: 0B5757BC
	v_mul_f32_e32 v172, v188, v172                             // 000000009EAC: 0B5959BC
	v_mul_f32_e32 v173, v188, v173                             // 000000009EB0: 0B5B5BBC
	v_mul_f32_e32 v174, v188, v174                             // 000000009EB4: 0B5D5DBC
	v_mul_f32_e32 v175, v188, v175                             // 000000009EB8: 0B5F5FBC
	v_mul_f32_e32 v176, v188, v176                             // 000000009EBC: 0B6161BC
	v_mul_f32_e32 v177, v188, v177                             // 000000009EC0: 0B6363BC
	v_mul_f32_e32 v178, v188, v178                             // 000000009EC4: 0B6565BC
	v_mul_f32_e32 v179, v188, v179                             // 000000009EC8: 0B6767BC
	s_barrier                                                  // 000000009ECC: BF8A0000
	v_cvt_pk_fp8_f32 v52, v52, v53                             // 000000009ED0: D2A20034 00026B34
	v_cvt_pk_fp8_f32 v52, v54, v55 op_sel:[0,0,1]              // 000000009ED8: D2A24034 00026F36
	v_cvt_pk_fp8_f32 v53, v56, v57                             // 000000009EE0: D2A20035 00027338
	v_cvt_pk_fp8_f32 v53, v58, v59 op_sel:[0,0,1]              // 000000009EE8: D2A24035 0002773A
	v_cvt_pk_fp8_f32 v54, v60, v61                             // 000000009EF0: D2A20036 00027B3C
	v_cvt_pk_fp8_f32 v54, v62, v63 op_sel:[0,0,1]              // 000000009EF8: D2A24036 00027F3E
	v_cvt_pk_fp8_f32 v55, v64, v65                             // 000000009F00: D2A20037 00028340
	v_cvt_pk_fp8_f32 v55, v66, v67 op_sel:[0,0,1]              // 000000009F08: D2A24037 00028742
	v_cvt_pk_fp8_f32 v56, v68, v69                             // 000000009F10: D2A20038 00028B44
	v_cvt_pk_fp8_f32 v56, v70, v71 op_sel:[0,0,1]              // 000000009F18: D2A24038 00028F46
	v_cvt_pk_fp8_f32 v57, v72, v73                             // 000000009F20: D2A20039 00029348
	v_cvt_pk_fp8_f32 v57, v74, v75 op_sel:[0,0,1]              // 000000009F28: D2A24039 0002974A
	v_cvt_pk_fp8_f32 v58, v76, v77                             // 000000009F30: D2A2003A 00029B4C
	v_cvt_pk_fp8_f32 v58, v78, v79 op_sel:[0,0,1]              // 000000009F38: D2A2403A 00029F4E
	v_cvt_pk_fp8_f32 v59, v80, v81                             // 000000009F40: D2A2003B 0002A350
	v_cvt_pk_fp8_f32 v59, v82, v83 op_sel:[0,0,1]              // 000000009F48: D2A2403B 0002A752
	v_cvt_pk_fp8_f32 v60, v84, v85                             // 000000009F50: D2A2003C 0002AB54
	v_cvt_pk_fp8_f32 v60, v86, v87 op_sel:[0,0,1]              // 000000009F58: D2A2403C 0002AF56
	v_cvt_pk_fp8_f32 v61, v88, v89                             // 000000009F60: D2A2003D 0002B358
	v_cvt_pk_fp8_f32 v61, v90, v91 op_sel:[0,0,1]              // 000000009F68: D2A2403D 0002B75A
	v_cvt_pk_fp8_f32 v62, v92, v93                             // 000000009F70: D2A2003E 0002BB5C
	v_cvt_pk_fp8_f32 v62, v94, v95 op_sel:[0,0,1]              // 000000009F78: D2A2403E 0002BF5E
	v_cvt_pk_fp8_f32 v63, v96, v97                             // 000000009F80: D2A2003F 0002C360
	v_cvt_pk_fp8_f32 v63, v98, v99 op_sel:[0,0,1]              // 000000009F88: D2A2403F 0002C762
	v_cvt_pk_fp8_f32 v64, v100, v101                           // 000000009F90: D2A20040 0002CB64
	v_cvt_pk_fp8_f32 v64, v102, v103 op_sel:[0,0,1]            // 000000009F98: D2A24040 0002CF66
	v_cvt_pk_fp8_f32 v65, v104, v105                           // 000000009FA0: D2A20041 0002D368
	v_cvt_pk_fp8_f32 v65, v106, v107 op_sel:[0,0,1]            // 000000009FA8: D2A24041 0002D76A
	v_cvt_pk_fp8_f32 v66, v108, v109                           // 000000009FB0: D2A20042 0002DB6C
	v_cvt_pk_fp8_f32 v66, v110, v111 op_sel:[0,0,1]            // 000000009FB8: D2A24042 0002DF6E
	v_cvt_pk_fp8_f32 v67, v112, v113                           // 000000009FC0: D2A20043 0002E370
	v_cvt_pk_fp8_f32 v67, v114, v115 op_sel:[0,0,1]            // 000000009FC8: D2A24043 0002E772
	s_barrier                                                  // 000000009FD0: BF8A0000
	s_waitcnt lgkmcnt(8)                                       // 000000009FD4: BF8CC87F
	s_setprio 1                                                // 000000009FD8: BF8F0001
	s_barrier                                                  // 000000009FDC: BF8A0000
	v_mfma_f32_32x32x64_f8f6f4 v[116:131], v[20:27], v[52:59], v[116:131]// 000000009FE0: D3AE0074 05D26914
	ds_read_b64_tr_b8 v[36:37], v219 offset:16672              // 000000009FE8: D9C44120 240000DB
	ds_read_b64_tr_b8 v[38:39], v219 offset:16928              // 000000009FF0: D9C44220 260000DB
	ds_read_b64_tr_b8 v[40:41], v219 offset:17184              // 000000009FF8: D9C44320 280000DB
	ds_read_b64_tr_b8 v[42:43], v219 offset:17440              // 00000000A000: D9C44420 2A0000DB
	s_waitcnt lgkmcnt(8)                                       // 00000000A008: BF8CC87F
	v_mfma_f32_32x32x64_f8f6f4 v[116:131], v[28:35], v[60:67], v[116:131]// 00000000A00C: D3AE0074 05D2791C
	ds_read_b64_tr_b8 v[44:45], v219 offset:24992              // 00000000A014: D9C461A0 2C0000DB
	ds_read_b64_tr_b8 v[46:47], v219 offset:25248              // 00000000A01C: D9C462A0 2E0000DB
	ds_read_b64_tr_b8 v[48:49], v219 offset:25504              // 00000000A024: D9C463A0 300000DB
	ds_read_b64_tr_b8 v[50:51], v219 offset:25760              // 00000000A02C: D9C464A0 320000DB
	s_waitcnt lgkmcnt(8)                                       // 00000000A034: BF8CC87F
	v_mfma_f32_32x32x64_f8f6f4 v[132:147], v[36:43], v[52:59], v[132:147]// 00000000A038: D3AE0084 06126924
	ds_read_b64_tr_b8 v[20:21], v219 offset:16704              // 00000000A040: D9C44140 140000DB
	ds_read_b64_tr_b8 v[22:23], v219 offset:16960              // 00000000A048: D9C44240 160000DB
	ds_read_b64_tr_b8 v[24:25], v219 offset:17216              // 00000000A050: D9C44340 180000DB
	ds_read_b64_tr_b8 v[26:27], v219 offset:17472              // 00000000A058: D9C44440 1A0000DB
	s_waitcnt lgkmcnt(8)                                       // 00000000A060: BF8CC87F
	v_mfma_f32_32x32x64_f8f6f4 v[132:147], v[44:51], v[60:67], v[132:147]// 00000000A064: D3AE0084 0612792C
	ds_read_b64_tr_b8 v[28:29], v219 offset:25024              // 00000000A06C: D9C461C0 1C0000DB
	ds_read_b64_tr_b8 v[30:31], v219 offset:25280              // 00000000A074: D9C462C0 1E0000DB
	ds_read_b64_tr_b8 v[32:33], v219 offset:25536              // 00000000A07C: D9C463C0 200000DB
	ds_read_b64_tr_b8 v[34:35], v219 offset:25792              // 00000000A084: D9C464C0 220000DB
	s_waitcnt lgkmcnt(8)                                       // 00000000A08C: BF8CC87F
	v_mfma_f32_32x32x64_f8f6f4 v[148:163], v[20:27], v[52:59], v[148:163]// 00000000A090: D3AE0094 06526914
	ds_read_b64_tr_b8 v[36:37], v219 offset:16736              // 00000000A098: D9C44160 240000DB
	ds_read_b64_tr_b8 v[38:39], v219 offset:16992              // 00000000A0A0: D9C44260 260000DB
	ds_read_b64_tr_b8 v[40:41], v219 offset:17248              // 00000000A0A8: D9C44360 280000DB
	ds_read_b64_tr_b8 v[42:43], v219 offset:17504              // 00000000A0B0: D9C44460 2A0000DB
	s_waitcnt lgkmcnt(8)                                       // 00000000A0B8: BF8CC87F
	v_mfma_f32_32x32x64_f8f6f4 v[148:163], v[28:35], v[60:67], v[148:163]// 00000000A0BC: D3AE0094 0652791C
	ds_read_b64_tr_b8 v[44:45], v219 offset:25056              // 00000000A0C4: D9C461E0 2C0000DB
	ds_read_b64_tr_b8 v[46:47], v219 offset:25312              // 00000000A0CC: D9C462E0 2E0000DB
	ds_read_b64_tr_b8 v[48:49], v219 offset:25568              // 00000000A0D4: D9C463E0 300000DB
	ds_read_b64_tr_b8 v[50:51], v219 offset:25824              // 00000000A0DC: D9C464E0 320000DB
	s_waitcnt lgkmcnt(8)                                       // 00000000A0E4: BF8CC87F
	v_mfma_f32_32x32x64_f8f6f4 v[164:179], v[36:43], v[52:59], v[164:179]// 00000000A0E8: D3AE00A4 06926924
	ds_read_b128 v[20:23], v218                                // 00000000A0F0: D9FE0000 140000DA
	ds_read_b128 v[24:27], v218 offset:32                      // 00000000A0F8: D9FE0020 180000DA
	s_waitcnt lgkmcnt(6)                                       // 00000000A100: BF8CC67F
	v_mfma_f32_32x32x64_f8f6f4 v[164:179], v[44:51], v[60:67], v[164:179]// 00000000A104: D3AE00A4 0692792C
	ds_read_b128 v[28:31], v218 offset:4160                    // 00000000A10C: D9FE1040 1C0000DA
	ds_read_b128 v[32:35], v218 offset:4192                    // 00000000A114: D9FE1060 200000DA
	s_addk_i32 s68, 0x80                                       // 00000000A11C: B7440080
	s_branch label_4970                                        // 00000000A120: BF82F913

000000000000a124 <label_6524>:
	s_barrier                                                  // 00000000A124: BF8A0000
	s_barrier                                                  // 00000000A128: BF8A0000
	s_barrier                                                  // 00000000A12C: BF8A0000
	s_barrier                                                  // 00000000A130: BF8A0000

000000000000a134 <label_6534>:
	v_mov_b32_e32 v184, v190                                   // 00000000A134: 7F7003BE
	s_nop 1                                                    // 00000000A138: BF800001
	v_permlane32_swap_b32_e32 v184, v190                       // 00000000A13C: 7F70B5BE
	v_add_f32_e32 v190, v190, v184                             // 00000000A140: 037D71BE
	v_rcp_f32_e32 v186, v190                                   // 00000000A144: 7F7445BE
	v_cmp_eq_u32_e64 s[66:67], 0, v190                         // 00000000A148: D0CA0042 00037C80
	s_nop 0                                                    // 00000000A150: BF800000
	v_cndmask_b32_e64 v186, v186, 0, s[66:67]                  // 00000000A154: D10000BA 010901BA
	v_mul_f32_e32 v186, s35, v186                              // 00000000A15C: 0B757423
	v_mov_b32_e32 v187, v186                                   // 00000000A160: 7F7603BA
	v_pk_mul_f32 v[116:117], v[116:117], v[186:187]            // 00000000A164: D3B14074 18037574
	v_pk_mul_f32 v[118:119], v[118:119], v[186:187]            // 00000000A16C: D3B14076 18037576
	v_pk_mul_f32 v[120:121], v[120:121], v[186:187]            // 00000000A174: D3B14078 18037578
	v_pk_mul_f32 v[122:123], v[122:123], v[186:187]            // 00000000A17C: D3B1407A 1803757A
	v_pk_mul_f32 v[124:125], v[124:125], v[186:187]            // 00000000A184: D3B1407C 1803757C
	v_pk_mul_f32 v[126:127], v[126:127], v[186:187]            // 00000000A18C: D3B1407E 1803757E
	v_pk_mul_f32 v[128:129], v[128:129], v[186:187]            // 00000000A194: D3B14080 18037580
	v_pk_mul_f32 v[130:131], v[130:131], v[186:187]            // 00000000A19C: D3B14082 18037582
	v_pk_mul_f32 v[132:133], v[132:133], v[186:187]            // 00000000A1A4: D3B14084 18037584
	v_pk_mul_f32 v[134:135], v[134:135], v[186:187]            // 00000000A1AC: D3B14086 18037586
	v_pk_mul_f32 v[136:137], v[136:137], v[186:187]            // 00000000A1B4: D3B14088 18037588
	v_pk_mul_f32 v[138:139], v[138:139], v[186:187]            // 00000000A1BC: D3B1408A 1803758A
	v_pk_mul_f32 v[140:141], v[140:141], v[186:187]            // 00000000A1C4: D3B1408C 1803758C
	v_pk_mul_f32 v[142:143], v[142:143], v[186:187]            // 00000000A1CC: D3B1408E 1803758E
	v_pk_mul_f32 v[144:145], v[144:145], v[186:187]            // 00000000A1D4: D3B14090 18037590
	v_pk_mul_f32 v[146:147], v[146:147], v[186:187]            // 00000000A1DC: D3B14092 18037592
	v_pk_mul_f32 v[148:149], v[148:149], v[186:187]            // 00000000A1E4: D3B14094 18037594
	v_pk_mul_f32 v[150:151], v[150:151], v[186:187]            // 00000000A1EC: D3B14096 18037596
	v_pk_mul_f32 v[152:153], v[152:153], v[186:187]            // 00000000A1F4: D3B14098 18037598
	v_pk_mul_f32 v[154:155], v[154:155], v[186:187]            // 00000000A1FC: D3B1409A 1803759A
	v_pk_mul_f32 v[156:157], v[156:157], v[186:187]            // 00000000A204: D3B1409C 1803759C
	v_pk_mul_f32 v[158:159], v[158:159], v[186:187]            // 00000000A20C: D3B1409E 1803759E
	v_pk_mul_f32 v[160:161], v[160:161], v[186:187]            // 00000000A214: D3B140A0 180375A0
	v_pk_mul_f32 v[162:163], v[162:163], v[186:187]            // 00000000A21C: D3B140A2 180375A2
	v_pk_mul_f32 v[164:165], v[164:165], v[186:187]            // 00000000A224: D3B140A4 180375A4
	v_pk_mul_f32 v[166:167], v[166:167], v[186:187]            // 00000000A22C: D3B140A6 180375A6
	v_pk_mul_f32 v[168:169], v[168:169], v[186:187]            // 00000000A234: D3B140A8 180375A8
	v_pk_mul_f32 v[170:171], v[170:171], v[186:187]            // 00000000A23C: D3B140AA 180375AA
	v_pk_mul_f32 v[172:173], v[172:173], v[186:187]            // 00000000A244: D3B140AC 180375AC
	v_pk_mul_f32 v[174:175], v[174:175], v[186:187]            // 00000000A24C: D3B140AE 180375AE
	v_pk_mul_f32 v[176:177], v[176:177], v[186:187]            // 00000000A254: D3B140B0 180375B0
	v_pk_mul_f32 v[178:179], v[178:179], v[186:187]            // 00000000A25C: D3B140B2 180375B2
	v_cvt_pk_bf16_f32 v116, v116, v117                         // 00000000A264: D2680074 0002EB74
	v_cvt_pk_bf16_f32 v117, v118, v119                         // 00000000A26C: D2680075 0002EF76
	v_cvt_pk_bf16_f32 v118, v120, v121                         // 00000000A274: D2680076 0002F378
	v_cvt_pk_bf16_f32 v119, v122, v123                         // 00000000A27C: D2680077 0002F77A
	v_cvt_pk_bf16_f32 v120, v124, v125                         // 00000000A284: D2680078 0002FB7C
	v_cvt_pk_bf16_f32 v121, v126, v127                         // 00000000A28C: D2680079 0002FF7E
	v_cvt_pk_bf16_f32 v122, v128, v129                         // 00000000A294: D268007A 00030380
	v_cvt_pk_bf16_f32 v123, v130, v131                         // 00000000A29C: D268007B 00030782
	v_permlane32_swap_b32_e32 v116, v118                       // 00000000A2A4: 7EE8B576
	v_permlane32_swap_b32_e32 v117, v119                       // 00000000A2A8: 7EEAB577
	v_permlane32_swap_b32_e32 v120, v122                       // 00000000A2AC: 7EF0B57A
	v_permlane32_swap_b32_e32 v121, v123                       // 00000000A2B0: 7EF2B57B
	v_add_u32_e32 v184, 0, v221                                // 00000000A2B4: 6971BA80
	buffer_store_dwordx4 v[116:119], v184, s[4:7], 0 offen     // 00000000A2B8: E07C1000 800174B8
	v_add_u32_e32 v184, 32, v221                               // 00000000A2C0: 6971BAA0
	buffer_store_dwordx4 v[120:123], v184, s[4:7], 0 offen     // 00000000A2C4: E07C1000 800178B8
	v_cvt_pk_bf16_f32 v124, v132, v133                         // 00000000A2CC: D268007C 00030B84
	v_cvt_pk_bf16_f32 v125, v134, v135                         // 00000000A2D4: D268007D 00030F86
	v_cvt_pk_bf16_f32 v126, v136, v137                         // 00000000A2DC: D268007E 00031388
	v_cvt_pk_bf16_f32 v127, v138, v139                         // 00000000A2E4: D268007F 0003178A
	v_cvt_pk_bf16_f32 v128, v140, v141                         // 00000000A2EC: D2680080 00031B8C
	v_cvt_pk_bf16_f32 v129, v142, v143                         // 00000000A2F4: D2680081 00031F8E
	v_cvt_pk_bf16_f32 v130, v144, v145                         // 00000000A2FC: D2680082 00032390
	v_cvt_pk_bf16_f32 v131, v146, v147                         // 00000000A304: D2680083 00032792
	v_permlane32_swap_b32_e32 v124, v126                       // 00000000A30C: 7EF8B57E
	v_permlane32_swap_b32_e32 v125, v127                       // 00000000A310: 7EFAB57F
	v_permlane32_swap_b32_e32 v128, v130                       // 00000000A314: 7F00B582
	v_permlane32_swap_b32_e32 v129, v131                       // 00000000A318: 7F02B583
	v_add_u32_e32 v184, 64, v221                               // 00000000A31C: 6971BAC0
	buffer_store_dwordx4 v[124:127], v184, s[4:7], 0 offen     // 00000000A320: E07C1000 80017CB8
	v_add_u32_e32 v184, 0x60, v221                             // 00000000A328: 6971BAFF 00000060
	buffer_store_dwordx4 v[128:131], v184, s[4:7], 0 offen     // 00000000A330: E07C1000 800180B8
	v_cvt_pk_bf16_f32 v132, v148, v149                         // 00000000A338: D2680084 00032B94
	v_cvt_pk_bf16_f32 v133, v150, v151                         // 00000000A340: D2680085 00032F96
	v_cvt_pk_bf16_f32 v134, v152, v153                         // 00000000A348: D2680086 00033398
	v_cvt_pk_bf16_f32 v135, v154, v155                         // 00000000A350: D2680087 0003379A
	v_cvt_pk_bf16_f32 v136, v156, v157                         // 00000000A358: D2680088 00033B9C
	v_cvt_pk_bf16_f32 v137, v158, v159                         // 00000000A360: D2680089 00033F9E
	v_cvt_pk_bf16_f32 v138, v160, v161                         // 00000000A368: D268008A 000343A0
	v_cvt_pk_bf16_f32 v139, v162, v163                         // 00000000A370: D268008B 000347A2
	v_permlane32_swap_b32_e32 v132, v134                       // 00000000A378: 7F08B586
	v_permlane32_swap_b32_e32 v133, v135                       // 00000000A37C: 7F0AB587
	v_permlane32_swap_b32_e32 v136, v138                       // 00000000A380: 7F10B58A
	v_permlane32_swap_b32_e32 v137, v139                       // 00000000A384: 7F12B58B
	v_add_u32_e32 v184, 0x80, v221                             // 00000000A388: 6971BAFF 00000080
	buffer_store_dwordx4 v[132:135], v184, s[4:7], 0 offen     // 00000000A390: E07C1000 800184B8
	v_add_u32_e32 v184, 0xa0, v221                             // 00000000A398: 6971BAFF 000000A0
	buffer_store_dwordx4 v[136:139], v184, s[4:7], 0 offen     // 00000000A3A0: E07C1000 800188B8
	v_cvt_pk_bf16_f32 v140, v164, v165                         // 00000000A3A8: D268008C 00034BA4
	v_cvt_pk_bf16_f32 v141, v166, v167                         // 00000000A3B0: D268008D 00034FA6
	v_cvt_pk_bf16_f32 v142, v168, v169                         // 00000000A3B8: D268008E 000353A8
	v_cvt_pk_bf16_f32 v143, v170, v171                         // 00000000A3C0: D268008F 000357AA
	v_cvt_pk_bf16_f32 v144, v172, v173                         // 00000000A3C8: D2680090 00035BAC
	v_cvt_pk_bf16_f32 v145, v174, v175                         // 00000000A3D0: D2680091 00035FAE
	v_cvt_pk_bf16_f32 v146, v176, v177                         // 00000000A3D8: D2680092 000363B0
	v_cvt_pk_bf16_f32 v147, v178, v179                         // 00000000A3E0: D2680093 000367B2
	v_permlane32_swap_b32_e32 v140, v142                       // 00000000A3E8: 7F18B58E
	v_permlane32_swap_b32_e32 v141, v143                       // 00000000A3EC: 7F1AB58F
	v_permlane32_swap_b32_e32 v144, v146                       // 00000000A3F0: 7F20B592
	v_permlane32_swap_b32_e32 v145, v147                       // 00000000A3F4: 7F22B593
	v_add_u32_e32 v184, 0xc0, v221                             // 00000000A3F8: 6971BAFF 000000C0
	buffer_store_dwordx4 v[140:143], v184, s[4:7], 0 offen     // 00000000A400: E07C1000 80018CB8
	v_add_u32_e32 v184, 0xe0, v221                             // 00000000A408: 6971BAFF 000000E0
	buffer_store_dwordx4 v[144:147], v184, s[4:7], 0 offen     // 00000000A410: E07C1000 800190B8
	s_cmp_lg_u32 s57, s63                                      // 00000000A418: BF073F39
	s_cbranch_scc1 label_6838                                  // 00000000A41C: BF850006
	s_sub_u32 s57, s56, s63                                    // 00000000A420: 80B93F38
	s_cmp_le_u32 s57, s63                                      // 00000000A424: BF0B3F39
	s_cbranch_scc1 label_6838                                  // 00000000A428: BF850003
	s_waitcnt vmcnt(0) expcnt(0) lgkmcnt(0)                    // 00000000A42C: BF8C0000
	s_barrier                                                  // 00000000A430: BF8A0000
	s_branch label_0500                                        // 00000000A434: BF82E732

000000000000a438 <label_6838>:
	s_waitcnt vmcnt(0) expcnt(0) lgkmcnt(0)                    // 00000000A438: BF8C0000
	s_endpgm                                                   // 00000000A43C: BF810000
